;; amdgpu-corpus repo=ROCm/rocFFT kind=compiled arch=gfx906 opt=O3
	.text
	.amdgcn_target "amdgcn-amd-amdhsa--gfx906"
	.amdhsa_code_object_version 6
	.protected	bluestein_single_back_len102_dim1_dp_op_CI_CI ; -- Begin function bluestein_single_back_len102_dim1_dp_op_CI_CI
	.globl	bluestein_single_back_len102_dim1_dp_op_CI_CI
	.p2align	8
	.type	bluestein_single_back_len102_dim1_dp_op_CI_CI,@function
bluestein_single_back_len102_dim1_dp_op_CI_CI: ; @bluestein_single_back_len102_dim1_dp_op_CI_CI
; %bb.0:
	s_mov_b64 s[62:63], s[2:3]
	v_mul_u32_u24_e32 v1, 0xf10, v0
	s_mov_b64 s[60:61], s[0:1]
	s_load_dwordx4 s[0:3], s[4:5], 0x28
	v_lshrrev_b32_e32 v1, 16, v1
	s_add_u32 s60, s60, s7
	v_mad_u64_u32 v[124:125], s[6:7], s6, 7, v[1:2]
	v_mov_b32_e32 v125, 0
	s_addc_u32 s61, s61, 0
	s_waitcnt lgkmcnt(0)
	v_cmp_gt_u64_e32 vcc, s[0:1], v[124:125]
	s_and_saveexec_b64 s[0:1], vcc
	s_cbranch_execz .LBB0_15
; %bb.1:
	s_mov_b32 s0, 0x24924925
	v_mul_hi_u32 v2, v124, s0
	s_load_dwordx2 s[6:7], s[4:5], 0x0
	s_load_dwordx2 s[12:13], s[4:5], 0x38
	v_mul_lo_u16_e32 v1, 17, v1
	v_sub_u16_e32 v255, v0, v1
	v_sub_u32_e32 v3, v124, v2
	v_lshrrev_b32_e32 v3, 1, v3
	v_add_u32_e32 v2, v3, v2
	v_lshrrev_b32_e32 v2, 2, v2
	v_mul_lo_u32 v2, v2, 7
	v_cmp_gt_u16_e32 vcc, 6, v255
	v_lshlrev_b32_e32 v189, 4, v255
	v_sub_u32_e32 v0, v124, v2
	v_mul_u32_u24_e32 v190, 0x66, v0
	v_lshlrev_b32_e32 v0, 4, v190
	buffer_store_dword v0, off, s[60:63], 0 ; 4-byte Folded Spill
	s_and_saveexec_b64 s[14:15], vcc
	s_cbranch_execz .LBB0_3
; %bb.2:
	s_load_dwordx2 s[0:1], s[4:5], 0x18
	v_or_b32_e32 v54, 48, v255
	v_or_b32_e32 v97, 0x48, v255
	;; [unrolled: 1-line block ×3, first 2 shown]
	s_waitcnt lgkmcnt(0)
	s_load_dwordx4 s[8:11], s[0:1], 0x0
	s_waitcnt lgkmcnt(0)
	v_mad_u64_u32 v[0:1], s[0:1], s10, v124, 0
	v_mad_u64_u32 v[2:3], s[0:1], s8, v255, 0
	s_mul_hi_u32 s16, s8, 0xc0
	s_mul_i32 s10, s8, 0xc0
	v_mad_u64_u32 v[4:5], s[0:1], s11, v124, v[1:2]
	s_mul_i32 s11, s9, 0xc0
	s_add_i32 s11, s16, s11
	v_mad_u64_u32 v[5:6], s[0:1], s9, v255, v[3:4]
	v_mov_b32_e32 v1, v4
	v_lshlrev_b64 v[0:1], 4, v[0:1]
	v_mov_b32_e32 v3, v5
	v_mov_b32_e32 v6, s3
	v_lshlrev_b64 v[2:3], 4, v[2:3]
	v_add_co_u32_e64 v12, s[0:1], s2, v0
	v_addc_co_u32_e64 v13, s[0:1], v6, v1, s[0:1]
	v_add_co_u32_e64 v4, s[0:1], v12, v2
	v_addc_co_u32_e64 v5, s[0:1], v13, v3, s[0:1]
	s_mul_i32 s0, s9, 0x60
	s_mul_hi_u32 s3, s8, 0x60
	v_or_b32_e32 v6, 24, v255
	s_add_i32 s3, s3, s0
	v_mad_u64_u32 v[18:19], s[0:1], s8, v6, 0
	s_mul_i32 s2, s8, 0x60
	v_mov_b32_e32 v0, s3
	v_add_co_u32_e64 v20, s[0:1], s2, v4
	v_addc_co_u32_e64 v21, s[0:1], v5, v0, s[0:1]
	global_load_dwordx4 v[8:11], v[4:5], off
	global_load_dwordx4 v[0:3], v[20:21], off
	v_mov_b32_e32 v4, v19
	v_mad_u64_u32 v[22:23], s[0:1], s9, v6, v[4:5]
	v_mov_b32_e32 v23, s3
	global_load_dwordx4 v[14:17], v189, s[6:7]
	global_load_dwordx4 v[4:7], v189, s[6:7] offset:96
	v_mov_b32_e32 v19, v22
	v_lshlrev_b64 v[18:19], 4, v[18:19]
	v_mov_b32_e32 v64, s3
	v_add_co_u32_e64 v58, s[0:1], v12, v18
	v_addc_co_u32_e64 v59, s[0:1], v13, v19, s[0:1]
	v_add_co_u32_e64 v50, s[0:1], s2, v20
	v_addc_co_u32_e64 v51, s[0:1], v21, v23, s[0:1]
	v_mov_b32_e32 v18, s3
	v_add_co_u32_e64 v52, s[0:1], s2, v50
	v_addc_co_u32_e64 v53, s[0:1], v51, v18, s[0:1]
	v_mad_u64_u32 v[66:67], s[0:1], s8, v54, 0
	global_load_dwordx4 v[18:21], v189, s[6:7] offset:192
	global_load_dwordx4 v[22:25], v189, s[6:7] offset:288
	global_load_dwordx4 v[26:29], v[50:51], off
	global_load_dwordx4 v[30:33], v[52:53], off
	global_load_dwordx4 v[34:37], v189, s[6:7] offset:384
	global_load_dwordx4 v[38:41], v189, s[6:7] offset:480
	;; [unrolled: 1-line block ×4, first 2 shown]
	v_mov_b32_e32 v51, s11
	v_mov_b32_e32 v50, v67
	v_mad_u64_u32 v[60:61], s[0:1], s9, v54, v[50:51]
	v_add_co_u32_e64 v61, s[0:1], s10, v52
	v_addc_co_u32_e64 v62, s[0:1], v53, v51, s[0:1]
	v_add_co_u32_e64 v63, s[0:1], s2, v61
	v_addc_co_u32_e64 v64, s[0:1], v62, v64, s[0:1]
	v_mov_b32_e32 v67, v60
	v_mov_b32_e32 v65, s3
	v_add_co_u32_e64 v70, s[0:1], s2, v63
	v_lshlrev_b64 v[66:67], 4, v[66:67]
	v_addc_co_u32_e64 v71, s[0:1], v64, v65, s[0:1]
	v_add_co_u32_e64 v66, s[0:1], v12, v66
	v_addc_co_u32_e64 v67, s[0:1], v13, v67, s[0:1]
	v_mov_b32_e32 v72, s11
	v_add_co_u32_e64 v82, s[0:1], s10, v70
	v_addc_co_u32_e64 v83, s[0:1], v71, v72, s[0:1]
	global_load_dwordx4 v[50:53], v[58:59], off
	global_load_dwordx4 v[54:57], v[61:62], off
	v_mov_b32_e32 v84, s3
	v_add_co_u32_e64 v94, s[0:1], s2, v82
	v_addc_co_u32_e64 v95, s[0:1], v83, v84, s[0:1]
	v_mad_u64_u32 v[98:99], s[0:1], s8, v97, 0
	v_mov_b32_e32 v101, s3
	global_load_dwordx4 v[58:61], v[63:64], off
	v_mov_b32_e32 v96, v99
	v_mad_u64_u32 v[99:100], s[0:1], s9, v97, v[96:97]
	v_add_co_u32_e64 v102, s[0:1], s2, v94
	v_lshlrev_b64 v[98:99], 4, v[98:99]
	v_addc_co_u32_e64 v103, s[0:1], v95, v101, s[0:1]
	v_add_co_u32_e64 v98, s[0:1], v12, v98
	v_addc_co_u32_e64 v99, s[0:1], v13, v99, s[0:1]
	global_load_dwordx4 v[62:65], v[70:71], off
	v_mov_b32_e32 v104, s11
	v_add_co_u32_e64 v114, s[0:1], s10, v102
	global_load_dwordx4 v[66:69], v[66:67], off
	v_addc_co_u32_e64 v115, s[0:1], v103, v104, s[0:1]
	global_load_dwordx4 v[70:73], v[82:83], off
	global_load_dwordx4 v[74:77], v189, s[6:7] offset:768
	global_load_dwordx4 v[78:81], v189, s[6:7] offset:864
	v_mov_b32_e32 v116, s3
	v_add_co_u32_e64 v118, s[0:1], s2, v114
	v_addc_co_u32_e64 v119, s[0:1], v115, v116, s[0:1]
	v_mad_u64_u32 v[122:123], s[0:1], s8, v121, 0
	global_load_dwordx4 v[82:85], v[94:95], off
	global_load_dwordx4 v[86:89], v189, s[6:7] offset:960
	global_load_dwordx4 v[90:93], v189, s[6:7] offset:1056
	v_mov_b32_e32 v120, s3
	global_load_dwordx4 v[94:97], v[102:103], off
	s_waitcnt vmcnt(17)
	v_mul_f64 v[141:142], v[28:29], v[20:21]
	global_load_dwordx4 v[98:101], v[98:99], off
	s_nop 0
	global_load_dwordx4 v[102:105], v[114:115], off
	global_load_dwordx4 v[106:109], v189, s[6:7] offset:1152
	global_load_dwordx4 v[110:113], v189, s[6:7] offset:1248
	v_mul_f64 v[20:21], v[26:27], v[20:21]
	global_load_dwordx4 v[114:117], v[118:119], off
	v_add_co_u32_e64 v118, s[0:1], s2, v118
	v_addc_co_u32_e64 v119, s[0:1], v119, v120, s[0:1]
	v_mov_b32_e32 v120, v123
	v_mad_u64_u32 v[133:134], s[0:1], s9, v121, v[120:121]
	global_load_dwordx4 v[118:121], v[118:119], off
	s_nop 0
	global_load_dwordx4 v[125:128], v189, s[6:7] offset:1344
	global_load_dwordx4 v[129:132], v189, s[6:7] offset:1440
	s_waitcnt vmcnt(24)
	v_mul_f64 v[143:144], v[32:33], v[24:25]
	v_mov_b32_e32 v123, v133
	v_lshlrev_b64 v[122:123], 4, v[122:123]
	v_mul_f64 v[24:25], v[30:31], v[24:25]
	v_add_co_u32_e64 v12, s[0:1], v12, v122
	v_addc_co_u32_e64 v13, s[0:1], v13, v123, s[0:1]
	global_load_dwordx4 v[133:136], v[12:13], off
	global_load_dwordx4 v[137:140], v189, s[6:7] offset:1536
	v_mul_f64 v[12:13], v[10:11], v[16:17]
	v_mul_f64 v[16:17], v[8:9], v[16:17]
	v_fma_f64 v[8:9], v[8:9], v[14:15], v[12:13]
	v_fma_f64 v[10:11], v[10:11], v[14:15], -v[16:17]
	v_mul_f64 v[16:17], v[2:3], v[6:7]
	v_mul_f64 v[6:7], v[0:1], v[6:7]
	s_waitcnt vmcnt(21)
	v_mul_f64 v[122:123], v[52:53], v[36:37]
	v_mul_f64 v[36:37], v[50:51], v[36:37]
	v_fma_f64 v[0:1], v[0:1], v[4:5], v[16:17]
	v_fma_f64 v[2:3], v[2:3], v[4:5], -v[6:7]
	v_fma_f64 v[4:5], v[26:27], v[18:19], v[141:142]
	v_fma_f64 v[6:7], v[28:29], v[18:19], -v[20:21]
	;; [unrolled: 2-line block ×4, first 2 shown]
	v_lshlrev_b32_e32 v21, 4, v190
	v_lshl_add_u32 v20, v255, 4, v21
	v_add_u32_e32 v32, v21, v189
	ds_write_b128 v20, v[8:11]
	ds_write_b128 v32, v[0:3] offset:96
	s_waitcnt vmcnt(20)
	v_mul_f64 v[0:1], v[56:57], v[40:41]
	v_mul_f64 v[2:3], v[54:55], v[40:41]
	ds_write_b128 v32, v[4:7] offset:192
	ds_write_b128 v32, v[16:19] offset:288
	s_waitcnt vmcnt(19)
	v_mul_f64 v[4:5], v[60:61], v[44:45]
	v_mul_f64 v[6:7], v[58:59], v[44:45]
	s_waitcnt vmcnt(18)
	v_mul_f64 v[8:9], v[64:65], v[48:49]
	v_mul_f64 v[10:11], v[62:63], v[48:49]
	ds_write_b128 v32, v[12:15] offset:384
	v_fma_f64 v[0:1], v[54:55], v[38:39], v[0:1]
	s_waitcnt vmcnt(15)
	v_mul_f64 v[12:13], v[68:69], v[76:77]
	v_mul_f64 v[14:15], v[66:67], v[76:77]
	v_fma_f64 v[2:3], v[56:57], v[38:39], -v[2:3]
	v_fma_f64 v[4:5], v[58:59], v[42:43], v[4:5]
	v_fma_f64 v[6:7], v[60:61], v[42:43], -v[6:7]
	v_fma_f64 v[8:9], v[62:63], v[46:47], v[8:9]
	v_fma_f64 v[10:11], v[64:65], v[46:47], -v[10:11]
	s_waitcnt vmcnt(14)
	v_mul_f64 v[16:17], v[72:73], v[80:81]
	v_fma_f64 v[12:13], v[66:67], v[74:75], v[12:13]
	v_fma_f64 v[14:15], v[68:69], v[74:75], -v[14:15]
	v_mul_f64 v[18:19], v[70:71], v[80:81]
	s_waitcnt vmcnt(12)
	v_mul_f64 v[20:21], v[84:85], v[88:89]
	s_waitcnt vmcnt(10)
	v_mul_f64 v[24:25], v[96:97], v[92:93]
	v_mul_f64 v[26:27], v[94:95], v[92:93]
	;; [unrolled: 1-line block ×3, first 2 shown]
	ds_write_b128 v32, v[0:3] offset:480
	ds_write_b128 v32, v[4:7] offset:576
	;; [unrolled: 1-line block ×4, first 2 shown]
	v_fma_f64 v[16:17], v[70:71], v[78:79], v[16:17]
	v_fma_f64 v[18:19], v[72:73], v[78:79], -v[18:19]
	s_waitcnt vmcnt(7)
	v_mul_f64 v[28:29], v[100:101], v[108:109]
	v_mul_f64 v[30:31], v[98:99], v[108:109]
	s_waitcnt vmcnt(6)
	v_mul_f64 v[8:9], v[104:105], v[112:113]
	v_mul_f64 v[10:11], v[102:103], v[112:113]
	v_fma_f64 v[0:1], v[94:95], v[90:91], v[24:25]
	v_fma_f64 v[2:3], v[96:97], v[90:91], -v[26:27]
	v_fma_f64 v[20:21], v[82:83], v[86:87], v[20:21]
	v_fma_f64 v[22:23], v[84:85], v[86:87], -v[22:23]
	;; [unrolled: 2-line block ×3, first 2 shown]
	s_waitcnt vmcnt(3)
	v_mul_f64 v[12:13], v[116:117], v[127:128]
	v_mul_f64 v[14:15], v[114:115], v[127:128]
	s_waitcnt vmcnt(2)
	v_mul_f64 v[24:25], v[120:121], v[131:132]
	v_mul_f64 v[26:27], v[118:119], v[131:132]
	v_fma_f64 v[8:9], v[102:103], v[110:111], v[8:9]
	v_fma_f64 v[10:11], v[104:105], v[110:111], -v[10:11]
	v_fma_f64 v[12:13], v[114:115], v[125:126], v[12:13]
	v_fma_f64 v[14:15], v[116:117], v[125:126], -v[14:15]
	s_waitcnt vmcnt(0)
	v_mul_f64 v[28:29], v[135:136], v[139:140]
	v_mul_f64 v[30:31], v[133:134], v[139:140]
	v_fma_f64 v[24:25], v[118:119], v[129:130], v[24:25]
	v_fma_f64 v[26:27], v[120:121], v[129:130], -v[26:27]
	v_fma_f64 v[28:29], v[133:134], v[137:138], v[28:29]
	v_fma_f64 v[30:31], v[135:136], v[137:138], -v[30:31]
	ds_write_b128 v32, v[16:19] offset:864
	ds_write_b128 v32, v[20:23] offset:960
	;; [unrolled: 1-line block ×8, first 2 shown]
.LBB0_3:
	s_or_b64 exec, exec, s[14:15]
	s_load_dwordx2 s[0:1], s[4:5], 0x20
	s_load_dwordx2 s[8:9], s[4:5], 0x8
	s_waitcnt vmcnt(0) lgkmcnt(0)
	s_barrier
	s_waitcnt lgkmcnt(0)
                                        ; implicit-def: $vgpr86_vgpr87
                                        ; implicit-def: $vgpr110_vgpr111
                                        ; implicit-def: $vgpr106_vgpr107
                                        ; implicit-def: $vgpr102_vgpr103
                                        ; implicit-def: $vgpr98_vgpr99
                                        ; implicit-def: $vgpr94_vgpr95
                                        ; implicit-def: $vgpr34_vgpr35
                                        ; implicit-def: $vgpr40_vgpr41
                                        ; implicit-def: $vgpr44_vgpr45
                                        ; implicit-def: $vgpr48_vgpr49
                                        ; implicit-def: $vgpr52_vgpr53
                                        ; implicit-def: $vgpr56_vgpr57
                                        ; implicit-def: $vgpr60_vgpr61
                                        ; implicit-def: $vgpr64_vgpr65
                                        ; implicit-def: $vgpr68_vgpr69
                                        ; implicit-def: $vgpr72_vgpr73
                                        ; implicit-def: $vgpr76_vgpr77
	s_and_saveexec_b64 s[2:3], vcc
	s_cbranch_execz .LBB0_5
; %bb.4:
	v_lshl_add_u32 v0, v190, 4, v189
	ds_read_b128 v[32:35], v0
	ds_read_b128 v[92:95], v0 offset:96
	ds_read_b128 v[96:99], v0 offset:192
	;; [unrolled: 1-line block ×16, first 2 shown]
.LBB0_5:
	s_or_b64 exec, exec, s[2:3]
	s_waitcnt lgkmcnt(0)
	v_add_f64 v[2:3], v[94:95], -v[78:79]
	s_mov_b32 s38, 0x5d8e7cdc
	s_mov_b32 s39, 0xbfd71e95
	v_add_f64 v[0:1], v[92:93], -v[76:77]
	v_add_f64 v[114:115], v[98:99], -v[74:75]
	s_mov_b32 s46, 0x2a9d6da3
	s_mov_b32 s36, 0x7c9e640b
	;; [unrolled: 1-line block ×3, first 2 shown]
	v_mul_f64 v[4:5], v[2:3], s[38:39]
	s_mov_b32 s24, 0x923c349f
	s_mov_b32 s47, 0xbfe58eea
	;; [unrolled: 1-line block ×5, first 2 shown]
	v_mul_f64 v[6:7], v[0:1], s[38:39]
	v_mul_f64 v[8:9], v[2:3], s[46:47]
	buffer_store_dword v4, off, s[60:63], 0 offset:4 ; 4-byte Folded Spill
	s_nop 0
	buffer_store_dword v5, off, s[60:63], 0 offset:8 ; 4-byte Folded Spill
	v_mul_f64 v[10:11], v[0:1], s[46:47]
	v_mul_f64 v[12:13], v[2:3], s[36:37]
	;; [unrolled: 1-line block ×7, first 2 shown]
	v_add_f64 v[112:113], v[96:97], -v[72:73]
	v_mul_f64 v[116:117], v[114:115], s[46:47]
	buffer_store_dword v6, off, s[60:63], 0 offset:12 ; 4-byte Folded Spill
	s_nop 0
	buffer_store_dword v7, off, s[60:63], 0 offset:16 ; 4-byte Folded Spill
	buffer_store_dword v8, off, s[60:63], 0 offset:20 ; 4-byte Folded Spill
	s_nop 0
	buffer_store_dword v9, off, s[60:63], 0 offset:24 ; 4-byte Folded Spill
	;; [unrolled: 3-line block ×9, first 2 shown]
	v_mul_f64 v[118:119], v[112:113], s[46:47]
	buffer_store_dword v116, off, s[60:63], 0 offset:28 ; 4-byte Folded Spill
	s_nop 0
	buffer_store_dword v117, off, s[60:63], 0 offset:32 ; 4-byte Folded Spill
	buffer_store_dword v118, off, s[60:63], 0 offset:36 ; 4-byte Folded Spill
	s_nop 0
	buffer_store_dword v119, off, s[60:63], 0 offset:40 ; 4-byte Folded Spill
	v_add_f64 v[122:123], v[92:93], v[76:77]
	s_mov_b32 s2, 0x370991
	s_mov_b32 s3, 0x3fedd6d0
	v_add_f64 v[125:126], v[94:95], v[78:79]
	v_add_f64 v[137:138], v[96:97], v[72:73]
	s_mov_b32 s10, 0x75d4884
	s_mov_b32 s11, 0x3fe7a5f6
	v_add_f64 v[139:140], v[98:99], v[74:75]
	s_mov_b32 s14, 0x3259b75e
	s_mov_b32 s15, 0x3fb79ee6
	;; [unrolled: 1-line block ×20, first 2 shown]
	v_mul_f64 v[24:25], v[2:3], s[26:27]
	s_mov_b32 s49, 0x3feec746
	s_mov_b32 s48, s24
	v_mul_f64 v[28:29], v[0:1], s[26:27]
	v_mul_f64 v[36:37], v[2:3], s[30:31]
	s_mov_b32 s29, 0x3feca52d
	s_mov_b32 s28, s36
	v_mul_f64 v[80:81], v[0:1], s[30:31]
	v_fma_f64 v[26:27], v[122:123], s[20:21], -v[24:25]
	v_fma_f64 v[24:25], v[122:123], s[20:21], v[24:25]
	v_mul_f64 v[2:3], v[2:3], s[34:35]
	v_fma_f64 v[30:31], v[125:126], s[20:21], v[28:29]
	v_fma_f64 v[28:29], v[125:126], s[20:21], -v[28:29]
	v_fma_f64 v[38:39], v[122:123], s[18:19], -v[36:37]
	v_fma_f64 v[36:37], v[122:123], s[18:19], v[36:37]
	v_fma_f64 v[82:83], v[125:126], s[18:19], v[80:81]
	v_add_f64 v[26:27], v[32:33], v[26:27]
	v_add_f64 v[24:25], v[32:33], v[24:25]
	v_fma_f64 v[80:81], v[125:126], s[18:19], -v[80:81]
	s_mov_b32 s43, 0x3fd71e95
	v_add_f64 v[28:29], v[34:35], v[28:29]
	v_add_f64 v[38:39], v[32:33], v[38:39]
	;; [unrolled: 1-line block ×3, first 2 shown]
	v_fma_f64 v[4:5], v[122:123], s[2:3], v[4:5]
	s_mov_b32 s42, s38
	v_fma_f64 v[88:89], v[122:123], s[22:23], -v[2:3]
	v_add_f64 v[80:81], v[34:35], v[80:81]
	v_mul_f64 v[0:1], v[0:1], s[34:35]
	v_fma_f64 v[2:3], v[122:123], s[22:23], v[2:3]
	v_add_f64 v[30:31], v[34:35], v[30:31]
	v_add_f64 v[161:162], v[100:101], v[68:69]
	;; [unrolled: 1-line block ×4, first 2 shown]
	v_fma_f64 v[6:7], v[125:126], s[2:3], -v[6:7]
	v_fma_f64 v[8:9], v[122:123], s[10:11], v[8:9]
	v_fma_f64 v[10:11], v[125:126], s[10:11], -v[10:11]
	v_fma_f64 v[12:13], v[122:123], s[4:5], v[12:13]
	;; [unrolled: 2-line block ×4, first 2 shown]
	v_add_f64 v[6:7], v[34:35], v[6:7]
	v_add_f64 v[8:9], v[32:33], v[8:9]
	v_fma_f64 v[116:117], v[137:138], s[10:11], v[116:117]
	v_add_f64 v[10:11], v[34:35], v[10:11]
	v_add_f64 v[12:13], v[32:33], v[12:13]
	;; [unrolled: 1-line block ×6, first 2 shown]
	v_fma_f64 v[22:23], v[125:126], s[16:17], -v[22:23]
	v_add_f64 v[4:5], v[116:117], v[4:5]
	v_fma_f64 v[116:117], v[139:140], s[10:11], -v[118:119]
	v_mul_f64 v[118:119], v[112:113], s[40:41]
	v_add_f64 v[88:89], v[32:33], v[88:89]
	v_fma_f64 v[90:91], v[125:126], s[22:23], v[0:1]
	v_add_f64 v[2:3], v[32:33], v[2:3]
	v_fma_f64 v[0:1], v[125:126], s[22:23], -v[0:1]
	v_add_f64 v[22:23], v[34:35], v[22:23]
	s_mov_b32 s45, 0x3fc7851a
	v_add_f64 v[6:7], v[116:117], v[6:7]
	v_mul_f64 v[116:117], v[114:115], s[40:41]
	buffer_store_dword v116, off, s[60:63], 0 offset:44 ; 4-byte Folded Spill
	s_nop 0
	buffer_store_dword v117, off, s[60:63], 0 offset:48 ; 4-byte Folded Spill
	buffer_store_dword v118, off, s[60:63], 0 offset:132 ; 4-byte Folded Spill
	s_nop 0
	buffer_store_dword v119, off, s[60:63], 0 offset:136 ; 4-byte Folded Spill
	v_add_f64 v[90:91], v[34:35], v[90:91]
	v_add_f64 v[0:1], v[34:35], v[0:1]
	s_mov_b32 s44, s34
	v_add_f64 v[82:83], v[34:35], v[82:83]
	v_add_f64 v[183:184], v[104:105], v[64:65]
	;; [unrolled: 1-line block ×3, first 2 shown]
	s_mov_b32 s53, 0x3fe9895b
	s_mov_b32 s52, s26
	v_add_f64 v[207:208], v[108:109], v[60:61]
	v_add_f64 v[209:210], v[110:111], v[62:63]
	;; [unrolled: 1-line block ×4, first 2 shown]
	v_add_f64 v[173:174], v[46:47], -v[50:51]
	v_add_f64 v[145:146], v[44:45], v[48:49]
	v_add_f64 v[167:168], v[44:45], -v[48:49]
	v_add_f64 v[147:148], v[46:47], v[50:51]
	v_mul_f64 v[155:156], v[173:174], s[30:31]
	v_mul_f64 v[143:144], v[167:168], s[42:43]
	;; [unrolled: 1-line block ×4, first 2 shown]
	v_fma_f64 v[116:117], v[137:138], s[14:15], v[116:117]
	v_add_f64 v[8:9], v[116:117], v[8:9]
	v_fma_f64 v[116:117], v[139:140], s[14:15], -v[118:119]
	v_mul_f64 v[118:119], v[112:113], s[26:27]
	v_add_f64 v[10:11], v[116:117], v[10:11]
	v_mul_f64 v[116:117], v[114:115], s[26:27]
	buffer_store_dword v116, off, s[60:63], 0 offset:140 ; 4-byte Folded Spill
	s_nop 0
	buffer_store_dword v117, off, s[60:63], 0 offset:144 ; 4-byte Folded Spill
	buffer_store_dword v118, off, s[60:63], 0 offset:148 ; 4-byte Folded Spill
	s_nop 0
	buffer_store_dword v119, off, s[60:63], 0 offset:152 ; 4-byte Folded Spill
	v_fma_f64 v[116:117], v[137:138], s[20:21], v[116:117]
	v_add_f64 v[12:13], v[116:117], v[12:13]
	v_fma_f64 v[116:117], v[139:140], s[20:21], -v[118:119]
	v_mul_f64 v[118:119], v[112:113], s[34:35]
	v_add_f64 v[14:15], v[116:117], v[14:15]
	v_mul_f64 v[116:117], v[114:115], s[34:35]
	buffer_store_dword v116, off, s[60:63], 0 offset:156 ; 4-byte Folded Spill
	s_nop 0
	buffer_store_dword v117, off, s[60:63], 0 offset:160 ; 4-byte Folded Spill
	buffer_store_dword v118, off, s[60:63], 0 offset:164 ; 4-byte Folded Spill
	s_nop 0
	buffer_store_dword v119, off, s[60:63], 0 offset:168 ; 4-byte Folded Spill
	;; [unrolled: 12-line block ×3, first 2 shown]
	v_fma_f64 v[116:117], v[137:138], s[18:19], v[116:117]
	v_add_f64 v[20:21], v[116:117], v[20:21]
	v_fma_f64 v[116:117], v[139:140], s[18:19], -v[118:119]
	v_add_f64 v[22:23], v[116:117], v[22:23]
	v_mul_f64 v[116:117], v[114:115], s[48:49]
	v_fma_f64 v[118:119], v[137:138], s[16:17], -v[116:117]
	v_fma_f64 v[116:117], v[137:138], s[16:17], v[116:117]
	v_add_f64 v[26:27], v[118:119], v[26:27]
	v_mul_f64 v[118:119], v[112:113], s[48:49]
	v_add_f64 v[24:25], v[116:117], v[24:25]
	v_fma_f64 v[116:117], v[139:140], s[16:17], -v[118:119]
	v_fma_f64 v[120:121], v[139:140], s[16:17], v[118:119]
	v_add_f64 v[28:29], v[116:117], v[28:29]
	v_mul_f64 v[116:117], v[114:115], s[28:29]
	v_mul_f64 v[114:115], v[114:115], s[42:43]
	v_add_f64 v[30:31], v[120:121], v[30:31]
	v_fma_f64 v[118:119], v[137:138], s[4:5], -v[116:117]
	v_fma_f64 v[116:117], v[137:138], s[4:5], v[116:117]
	v_add_f64 v[38:39], v[118:119], v[38:39]
	v_mul_f64 v[118:119], v[112:113], s[28:29]
	v_add_f64 v[36:37], v[116:117], v[36:37]
	v_mul_f64 v[112:113], v[112:113], s[42:43]
	v_fma_f64 v[116:117], v[139:140], s[4:5], -v[118:119]
	v_fma_f64 v[120:121], v[139:140], s[4:5], v[118:119]
	v_add_f64 v[80:81], v[116:117], v[80:81]
	v_fma_f64 v[116:117], v[137:138], s[2:3], -v[114:115]
	v_fma_f64 v[114:115], v[137:138], s[2:3], v[114:115]
	v_add_f64 v[82:83], v[120:121], v[82:83]
	v_add_f64 v[88:89], v[116:117], v[88:89]
	v_fma_f64 v[116:117], v[139:140], s[2:3], v[112:113]
	v_add_f64 v[2:3], v[114:115], v[2:3]
	v_fma_f64 v[112:113], v[139:140], s[2:3], -v[112:113]
	v_add_f64 v[114:115], v[102:103], -v[70:71]
	v_add_f64 v[90:91], v[116:117], v[90:91]
	v_add_f64 v[0:1], v[112:113], v[0:1]
	v_add_f64 v[112:113], v[100:101], -v[68:69]
	v_mul_f64 v[116:117], v[114:115], s[36:37]
	buffer_store_dword v116, off, s[60:63], 0 offset:108 ; 4-byte Folded Spill
	s_nop 0
	buffer_store_dword v117, off, s[60:63], 0 offset:112 ; 4-byte Folded Spill
	v_mul_f64 v[118:119], v[112:113], s[36:37]
	buffer_store_dword v118, off, s[60:63], 0 offset:116 ; 4-byte Folded Spill
	s_nop 0
	buffer_store_dword v119, off, s[60:63], 0 offset:120 ; 4-byte Folded Spill
	v_mul_f64 v[193:194], v[112:113], s[48:49]
	v_fma_f64 v[116:117], v[161:162], s[4:5], v[116:117]
	v_add_f64 v[4:5], v[116:117], v[4:5]
	v_fma_f64 v[116:117], v[163:164], s[4:5], -v[118:119]
	v_mul_f64 v[118:119], v[112:113], s[26:27]
	v_add_f64 v[6:7], v[116:117], v[6:7]
	v_mul_f64 v[116:117], v[114:115], s[26:27]
	buffer_store_dword v116, off, s[60:63], 0 offset:124 ; 4-byte Folded Spill
	s_nop 0
	buffer_store_dword v117, off, s[60:63], 0 offset:128 ; 4-byte Folded Spill
	buffer_store_dword v118, off, s[60:63], 0 offset:212 ; 4-byte Folded Spill
	s_nop 0
	buffer_store_dword v119, off, s[60:63], 0 offset:216 ; 4-byte Folded Spill
	v_fma_f64 v[116:117], v[161:162], s[20:21], v[116:117]
	v_add_f64 v[8:9], v[116:117], v[8:9]
	v_fma_f64 v[116:117], v[163:164], s[20:21], -v[118:119]
	v_mul_f64 v[118:119], v[112:113], s[44:45]
	v_add_f64 v[10:11], v[116:117], v[10:11]
	v_mul_f64 v[116:117], v[114:115], s[44:45]
	buffer_store_dword v116, off, s[60:63], 0 offset:220 ; 4-byte Folded Spill
	s_nop 0
	buffer_store_dword v117, off, s[60:63], 0 offset:224 ; 4-byte Folded Spill
	buffer_store_dword v118, off, s[60:63], 0 offset:228 ; 4-byte Folded Spill
	s_nop 0
	buffer_store_dword v119, off, s[60:63], 0 offset:232 ; 4-byte Folded Spill
	s_mov_b32 s45, 0x3fe58eea
	s_mov_b32 s44, s46
	v_mul_f64 v[197:198], v[114:115], s[44:45]
	v_mul_f64 v[199:200], v[112:113], s[44:45]
	v_fma_f64 v[116:117], v[161:162], s[22:23], v[116:117]
	v_add_f64 v[12:13], v[116:117], v[12:13]
	v_fma_f64 v[116:117], v[163:164], s[22:23], -v[118:119]
	v_add_f64 v[14:15], v[116:117], v[14:15]
	v_mul_f64 v[116:117], v[114:115], s[48:49]
	buffer_store_dword v116, off, s[60:63], 0 offset:236 ; 4-byte Folded Spill
	s_nop 0
	buffer_store_dword v117, off, s[60:63], 0 offset:240 ; 4-byte Folded Spill
	v_fma_f64 v[116:117], v[161:162], s[16:17], v[116:117]
	v_add_f64 v[16:17], v[116:117], v[16:17]
	v_fma_f64 v[116:117], v[163:164], s[16:17], -v[193:194]
	v_add_f64 v[18:19], v[116:117], v[18:19]
	v_fma_f64 v[116:117], v[161:162], s[10:11], v[197:198]
	v_add_f64 v[20:21], v[116:117], v[20:21]
	v_fma_f64 v[116:117], v[163:164], s[10:11], -v[199:200]
	v_add_f64 v[22:23], v[116:117], v[22:23]
	v_mul_f64 v[116:117], v[114:115], s[38:39]
	v_fma_f64 v[118:119], v[161:162], s[2:3], -v[116:117]
	v_fma_f64 v[116:117], v[161:162], s[2:3], v[116:117]
	v_add_f64 v[26:27], v[118:119], v[26:27]
	v_mul_f64 v[118:119], v[112:113], s[38:39]
	v_add_f64 v[24:25], v[116:117], v[24:25]
	v_fma_f64 v[116:117], v[163:164], s[2:3], -v[118:119]
	v_fma_f64 v[120:121], v[163:164], s[2:3], v[118:119]
	v_add_f64 v[28:29], v[116:117], v[28:29]
	v_mul_f64 v[116:117], v[114:115], s[40:41]
	v_mul_f64 v[114:115], v[114:115], s[30:31]
	v_add_f64 v[30:31], v[120:121], v[30:31]
	v_fma_f64 v[118:119], v[161:162], s[14:15], -v[116:117]
	v_fma_f64 v[116:117], v[161:162], s[14:15], v[116:117]
	v_add_f64 v[38:39], v[118:119], v[38:39]
	v_mul_f64 v[118:119], v[112:113], s[40:41]
	v_add_f64 v[36:37], v[116:117], v[36:37]
	v_mul_f64 v[112:113], v[112:113], s[30:31]
	v_fma_f64 v[116:117], v[163:164], s[14:15], -v[118:119]
	v_fma_f64 v[120:121], v[163:164], s[14:15], v[118:119]
	v_add_f64 v[80:81], v[116:117], v[80:81]
	v_fma_f64 v[116:117], v[161:162], s[18:19], -v[114:115]
	v_fma_f64 v[114:115], v[161:162], s[18:19], v[114:115]
	v_add_f64 v[82:83], v[120:121], v[82:83]
	v_add_f64 v[88:89], v[116:117], v[88:89]
	v_fma_f64 v[116:117], v[163:164], s[18:19], v[112:113]
	v_add_f64 v[2:3], v[114:115], v[2:3]
	v_fma_f64 v[112:113], v[163:164], s[18:19], -v[112:113]
	v_add_f64 v[114:115], v[106:107], -v[66:67]
	v_add_f64 v[90:91], v[116:117], v[90:91]
	v_add_f64 v[0:1], v[112:113], v[0:1]
	v_add_f64 v[112:113], v[104:105], -v[64:65]
	v_mul_f64 v[116:117], v[114:115], s[40:41]
	buffer_store_dword v116, off, s[60:63], 0 offset:180 ; 4-byte Folded Spill
	s_nop 0
	buffer_store_dword v117, off, s[60:63], 0 offset:184 ; 4-byte Folded Spill
	v_mul_f64 v[118:119], v[112:113], s[40:41]
	buffer_store_dword v118, off, s[60:63], 0 offset:188 ; 4-byte Folded Spill
	s_nop 0
	buffer_store_dword v119, off, s[60:63], 0 offset:192 ; 4-byte Folded Spill
	v_mul_f64 v[201:202], v[112:113], s[34:35]
	v_mul_f64 v[203:204], v[114:115], s[48:49]
	;; [unrolled: 1-line block ×7, first 2 shown]
	v_fma_f64 v[116:117], v[183:184], s[14:15], v[116:117]
	v_add_f64 v[4:5], v[116:117], v[4:5]
	v_fma_f64 v[116:117], v[185:186], s[14:15], -v[118:119]
	v_add_f64 v[6:7], v[116:117], v[6:7]
	v_mul_f64 v[116:117], v[114:115], s[34:35]
	buffer_store_dword v116, off, s[60:63], 0 offset:204 ; 4-byte Folded Spill
	s_nop 0
	buffer_store_dword v117, off, s[60:63], 0 offset:208 ; 4-byte Folded Spill
	v_fma_f64 v[116:117], v[183:184], s[22:23], v[116:117]
	v_add_f64 v[8:9], v[116:117], v[8:9]
	v_fma_f64 v[116:117], v[185:186], s[22:23], -v[201:202]
	v_add_f64 v[10:11], v[116:117], v[10:11]
	v_fma_f64 v[116:117], v[183:184], s[16:17], v[203:204]
	v_add_f64 v[12:13], v[116:117], v[12:13]
	v_fma_f64 v[116:117], v[185:186], s[16:17], -v[205:206]
	v_add_f64 v[14:15], v[116:117], v[14:15]
	;; [unrolled: 4-line block ×4, first 2 shown]
	v_mul_f64 v[116:117], v[114:115], s[30:31]
	v_fma_f64 v[118:119], v[183:184], s[18:19], -v[116:117]
	v_fma_f64 v[116:117], v[183:184], s[18:19], v[116:117]
	v_add_f64 v[26:27], v[118:119], v[26:27]
	v_mul_f64 v[118:119], v[112:113], s[30:31]
	v_add_f64 v[24:25], v[116:117], v[24:25]
	v_fma_f64 v[116:117], v[185:186], s[18:19], -v[118:119]
	v_fma_f64 v[120:121], v[185:186], s[18:19], v[118:119]
	v_add_f64 v[28:29], v[116:117], v[28:29]
	v_mul_f64 v[116:117], v[114:115], s[52:53]
	v_mul_f64 v[114:115], v[114:115], s[44:45]
	v_add_f64 v[30:31], v[120:121], v[30:31]
	v_fma_f64 v[118:119], v[183:184], s[20:21], -v[116:117]
	v_fma_f64 v[116:117], v[183:184], s[20:21], v[116:117]
	v_add_f64 v[38:39], v[118:119], v[38:39]
	v_mul_f64 v[118:119], v[112:113], s[52:53]
	v_add_f64 v[36:37], v[116:117], v[36:37]
	v_mul_f64 v[112:113], v[112:113], s[44:45]
	v_fma_f64 v[116:117], v[185:186], s[20:21], -v[118:119]
	v_fma_f64 v[120:121], v[185:186], s[20:21], v[118:119]
	v_add_f64 v[80:81], v[116:117], v[80:81]
	v_fma_f64 v[116:117], v[183:184], s[10:11], -v[114:115]
	v_fma_f64 v[114:115], v[183:184], s[10:11], v[114:115]
	v_add_f64 v[82:83], v[120:121], v[82:83]
	v_add_f64 v[88:89], v[116:117], v[88:89]
	v_fma_f64 v[116:117], v[185:186], s[10:11], v[112:113]
	v_add_f64 v[2:3], v[114:115], v[2:3]
	v_add_f64 v[114:115], v[110:111], -v[62:63]
	v_fma_f64 v[112:113], v[185:186], s[10:11], -v[112:113]
	v_add_f64 v[90:91], v[116:117], v[90:91]
	v_mul_f64 v[116:117], v[114:115], s[24:25]
	buffer_store_dword v116, off, s[60:63], 0 offset:244 ; 4-byte Folded Spill
	s_nop 0
	buffer_store_dword v117, off, s[60:63], 0 offset:248 ; 4-byte Folded Spill
	v_add_f64 v[0:1], v[112:113], v[0:1]
	v_add_f64 v[112:113], v[108:109], -v[60:61]
	v_mul_f64 v[195:196], v[114:115], s[50:51]
	v_mul_f64 v[229:230], v[114:115], s[44:45]
	;; [unrolled: 1-line block ×4, first 2 shown]
	s_waitcnt vmcnt(0)
	s_barrier
	v_mul_f64 v[191:192], v[112:113], s[24:25]
	v_mul_f64 v[227:228], v[112:113], s[50:51]
	;; [unrolled: 1-line block ×5, first 2 shown]
	s_mov_b32 s37, 0x3fefdd0d
	s_mov_b32 s36, s40
	v_fma_f64 v[116:117], v[207:208], s[16:17], v[116:117]
	v_add_f64 v[4:5], v[116:117], v[4:5]
	v_fma_f64 v[116:117], v[209:210], s[16:17], -v[191:192]
	v_add_f64 v[6:7], v[116:117], v[6:7]
	v_fma_f64 v[116:117], v[207:208], s[18:19], v[195:196]
	v_add_f64 v[8:9], v[116:117], v[8:9]
	v_fma_f64 v[116:117], v[209:210], s[18:19], -v[227:228]
	v_add_f64 v[10:11], v[116:117], v[10:11]
	;; [unrolled: 4-line block ×5, first 2 shown]
	v_mul_f64 v[116:117], v[114:115], s[36:37]
	v_fma_f64 v[118:119], v[207:208], s[14:15], -v[116:117]
	v_fma_f64 v[116:117], v[207:208], s[14:15], v[116:117]
	v_add_f64 v[26:27], v[118:119], v[26:27]
	v_mul_f64 v[118:119], v[112:113], s[36:37]
	v_add_f64 v[24:25], v[116:117], v[24:25]
	v_fma_f64 v[116:117], v[209:210], s[14:15], -v[118:119]
	v_fma_f64 v[120:121], v[209:210], s[14:15], v[118:119]
	v_add_f64 v[28:29], v[116:117], v[28:29]
	v_mul_f64 v[116:117], v[114:115], s[38:39]
	v_mul_f64 v[114:115], v[114:115], s[26:27]
	v_add_f64 v[30:31], v[120:121], v[30:31]
	v_fma_f64 v[118:119], v[207:208], s[2:3], -v[116:117]
	v_fma_f64 v[116:117], v[207:208], s[2:3], v[116:117]
	v_add_f64 v[38:39], v[118:119], v[38:39]
	v_mul_f64 v[118:119], v[112:113], s[38:39]
	v_add_f64 v[36:37], v[116:117], v[36:37]
	v_mul_f64 v[112:113], v[112:113], s[26:27]
	v_fma_f64 v[116:117], v[209:210], s[2:3], -v[118:119]
	v_fma_f64 v[120:121], v[209:210], s[2:3], v[118:119]
	v_add_f64 v[118:119], v[86:87], -v[58:59]
	v_add_f64 v[80:81], v[116:117], v[80:81]
	v_fma_f64 v[116:117], v[207:208], s[20:21], -v[114:115]
	v_mul_f64 v[213:214], v[118:119], s[26:27]
	v_fma_f64 v[114:115], v[207:208], s[20:21], v[114:115]
	v_mul_f64 v[219:220], v[118:119], s[48:49]
	v_mul_f64 v[225:226], v[118:119], s[38:39]
	v_add_f64 v[82:83], v[120:121], v[82:83]
	v_mul_f64 v[129:130], v[118:119], s[30:31]
	v_mul_f64 v[133:134], v[118:119], s[36:37]
	v_add_f64 v[88:89], v[116:117], v[88:89]
	v_fma_f64 v[116:117], v[209:210], s[20:21], v[112:113]
	v_fma_f64 v[112:113], v[209:210], s[20:21], -v[112:113]
	v_add_f64 v[2:3], v[114:115], v[2:3]
	v_fma_f64 v[114:115], v[233:234], s[16:17], v[219:220]
	v_fma_f64 v[120:121], v[233:234], s[2:3], v[225:226]
	v_add_f64 v[90:91], v[116:117], v[90:91]
	v_add_f64 v[116:117], v[84:85], -v[56:57]
	v_add_f64 v[0:1], v[112:113], v[0:1]
	v_fma_f64 v[112:113], v[233:234], s[20:21], v[213:214]
	v_add_f64 v[8:9], v[114:115], v[8:9]
	v_add_f64 v[12:13], v[120:121], v[12:13]
	v_mul_f64 v[215:216], v[116:117], s[26:27]
	v_mul_f64 v[131:132], v[116:117], s[30:31]
	v_add_f64 v[4:5], v[112:113], v[4:5]
	v_mul_f64 v[135:136], v[116:117], s[36:37]
	v_fma_f64 v[112:113], v[235:236], s[20:21], -v[215:216]
	v_add_f64 v[6:7], v[112:113], v[6:7]
	v_mul_f64 v[112:113], v[116:117], s[48:49]
	v_fma_f64 v[114:115], v[235:236], s[16:17], -v[112:113]
	;; [unrolled: 3-line block ×3, first 2 shown]
	v_add_f64 v[14:15], v[120:121], v[14:15]
	v_fma_f64 v[120:121], v[233:234], s[18:19], v[129:130]
	v_add_f64 v[16:17], v[120:121], v[16:17]
	v_fma_f64 v[120:121], v[235:236], s[18:19], -v[131:132]
	v_add_f64 v[18:19], v[120:121], v[18:19]
	v_fma_f64 v[120:121], v[233:234], s[14:15], v[133:134]
	v_add_f64 v[20:21], v[120:121], v[20:21]
	v_fma_f64 v[120:121], v[235:236], s[14:15], -v[135:136]
	v_add_f64 v[22:23], v[120:121], v[22:23]
	v_mul_f64 v[120:121], v[118:119], s[46:47]
	v_fma_f64 v[127:128], v[233:234], s[10:11], -v[120:121]
	v_fma_f64 v[120:121], v[233:234], s[10:11], v[120:121]
	v_add_f64 v[26:27], v[127:128], v[26:27]
	v_mul_f64 v[127:128], v[116:117], s[46:47]
	v_add_f64 v[24:25], v[120:121], v[24:25]
	v_fma_f64 v[120:121], v[235:236], s[10:11], -v[127:128]
	v_fma_f64 v[141:142], v[235:236], s[10:11], v[127:128]
	v_add_f64 v[28:29], v[120:121], v[28:29]
	v_mul_f64 v[120:121], v[118:119], s[34:35]
	v_mul_f64 v[118:119], v[118:119], s[28:29]
	v_add_f64 v[30:31], v[141:142], v[30:31]
	v_fma_f64 v[127:128], v[233:234], s[22:23], -v[120:121]
	v_fma_f64 v[120:121], v[233:234], s[22:23], v[120:121]
	v_add_f64 v[38:39], v[127:128], v[38:39]
	v_mul_f64 v[127:128], v[116:117], s[34:35]
	v_add_f64 v[36:37], v[120:121], v[36:37]
	v_mul_f64 v[116:117], v[116:117], s[28:29]
	v_fma_f64 v[120:121], v[235:236], s[22:23], -v[127:128]
	v_fma_f64 v[141:142], v[235:236], s[22:23], v[127:128]
	v_add_f64 v[127:128], v[42:43], -v[54:55]
	v_add_f64 v[80:81], v[120:121], v[80:81]
	v_fma_f64 v[120:121], v[233:234], s[4:5], -v[118:119]
	v_fma_f64 v[118:119], v[233:234], s[4:5], v[118:119]
	v_mul_f64 v[237:238], v[127:128], s[30:31]
	v_add_f64 v[82:83], v[141:142], v[82:83]
	v_mul_f64 v[243:244], v[127:128], s[28:29]
	v_mul_f64 v[251:252], v[127:128], s[40:41]
	;; [unrolled: 1-line block ×4, first 2 shown]
	v_add_f64 v[88:89], v[120:121], v[88:89]
	v_fma_f64 v[120:121], v[235:236], s[4:5], v[116:117]
	v_fma_f64 v[116:117], v[235:236], s[4:5], -v[116:117]
	v_add_f64 v[2:3], v[118:119], v[2:3]
	v_add_f64 v[118:119], v[42:43], v[54:55]
	;; [unrolled: 1-line block ×5, first 2 shown]
	v_add_f64 v[120:121], v[40:41], -v[52:53]
	v_fma_f64 v[141:142], v[116:117], s[18:19], v[237:238]
	v_mul_f64 v[239:240], v[120:121], s[30:31]
	v_mul_f64 v[249:250], v[120:121], s[28:29]
	;; [unrolled: 1-line block ×5, first 2 shown]
	v_add_f64 v[4:5], v[141:142], v[4:5]
	v_fma_f64 v[141:142], v[118:119], s[18:19], -v[239:240]
	v_add_f64 v[6:7], v[141:142], v[6:7]
	v_fma_f64 v[141:142], v[116:117], s[4:5], v[243:244]
	v_add_f64 v[8:9], v[141:142], v[8:9]
	v_fma_f64 v[141:142], v[118:119], s[4:5], -v[249:250]
	v_add_f64 v[10:11], v[141:142], v[10:11]
	v_fma_f64 v[141:142], v[116:117], s[14:15], v[251:252]
	v_add_f64 v[169:170], v[141:142], v[12:13]
	v_fma_f64 v[12:13], v[118:119], s[14:15], -v[149:150]
	v_mul_f64 v[141:142], v[127:128], s[34:35]
	v_add_f64 v[171:172], v[12:13], v[14:15]
	v_fma_f64 v[12:13], v[116:117], s[20:21], v[151:152]
	v_fma_f64 v[14:15], v[118:119], s[20:21], -v[153:154]
	v_add_f64 v[12:13], v[12:13], v[16:17]
	v_fma_f64 v[16:17], v[116:117], s[2:3], v[159:160]
	v_add_f64 v[14:15], v[14:15], v[18:19]
	v_fma_f64 v[18:19], v[118:119], s[2:3], -v[165:166]
	v_add_f64 v[16:17], v[16:17], v[20:21]
	v_fma_f64 v[20:21], v[116:117], s[22:23], -v[141:142]
	v_add_f64 v[18:19], v[18:19], v[22:23]
	v_add_f64 v[20:21], v[20:21], v[26:27]
	v_mul_f64 v[26:27], v[120:121], s[34:35]
	v_fma_f64 v[22:23], v[118:119], s[22:23], v[26:27]
	v_fma_f64 v[26:27], v[118:119], s[22:23], -v[26:27]
	v_add_f64 v[22:23], v[22:23], v[30:31]
	v_fma_f64 v[30:31], v[116:117], s[22:23], v[141:142]
	v_mul_f64 v[141:142], v[127:128], s[44:45]
	v_add_f64 v[26:27], v[26:27], v[28:29]
	v_mul_f64 v[127:128], v[127:128], s[24:25]
	v_add_f64 v[24:25], v[30:31], v[24:25]
	v_fma_f64 v[28:29], v[116:117], s[10:11], -v[141:142]
	v_add_f64 v[28:29], v[28:29], v[38:39]
	v_mul_f64 v[38:39], v[120:121], s[44:45]
	v_mul_f64 v[120:121], v[120:121], s[24:25]
	v_fma_f64 v[30:31], v[118:119], s[10:11], v[38:39]
	v_fma_f64 v[38:39], v[118:119], s[10:11], -v[38:39]
	v_add_f64 v[30:31], v[30:31], v[82:83]
	v_add_f64 v[38:39], v[38:39], v[80:81]
	v_fma_f64 v[80:81], v[116:117], s[16:17], -v[127:128]
	v_fma_f64 v[82:83], v[116:117], s[10:11], v[141:142]
	v_mul_f64 v[141:142], v[173:174], s[42:43]
	v_add_f64 v[80:81], v[80:81], v[88:89]
	v_fma_f64 v[88:89], v[116:117], s[16:17], v[127:128]
	v_add_f64 v[36:37], v[82:83], v[36:37]
	v_fma_f64 v[82:83], v[118:119], s[16:17], v[120:121]
	v_mul_f64 v[127:128], v[167:168], s[34:35]
	v_add_f64 v[88:89], v[88:89], v[2:3]
	v_fma_f64 v[2:3], v[118:119], s[16:17], -v[120:121]
	v_mul_f64 v[120:121], v[173:174], s[34:35]
	v_add_f64 v[82:83], v[82:83], v[90:91]
	v_add_f64 v[90:91], v[2:3], v[0:1]
	v_fma_f64 v[0:1], v[145:146], s[22:23], v[120:121]
	v_fma_f64 v[2:3], v[147:148], s[22:23], -v[127:128]
	v_add_f64 v[0:1], v[0:1], v[4:5]
	v_fma_f64 v[4:5], v[145:146], s[2:3], v[141:142]
	v_add_f64 v[2:3], v[2:3], v[6:7]
	v_fma_f64 v[6:7], v[147:148], s[2:3], -v[143:144]
	v_add_f64 v[4:5], v[4:5], v[8:9]
	v_fma_f64 v[8:9], v[145:146], s[18:19], v[155:156]
	v_add_f64 v[6:7], v[6:7], v[10:11]
	v_fma_f64 v[10:11], v[147:148], s[18:19], -v[157:158]
	v_add_f64 v[8:9], v[8:9], v[169:170]
	v_mul_f64 v[169:170], v[173:174], s[44:45]
	v_add_f64 v[10:11], v[10:11], v[171:172]
	v_mul_f64 v[171:172], v[167:168], s[44:45]
	v_fma_f64 v[175:176], v[145:146], s[10:11], v[169:170]
	v_add_f64 v[12:13], v[175:176], v[12:13]
	v_fma_f64 v[175:176], v[147:148], s[10:11], -v[171:172]
	v_add_f64 v[14:15], v[175:176], v[14:15]
	v_mul_f64 v[175:176], v[173:174], s[26:27]
	v_fma_f64 v[181:182], v[145:146], s[20:21], v[175:176]
	v_add_f64 v[16:17], v[181:182], v[16:17]
	v_fma_f64 v[181:182], v[147:148], s[20:21], -v[177:178]
	v_add_f64 v[18:19], v[181:182], v[18:19]
	v_mul_f64 v[181:182], v[173:174], s[28:29]
	v_fma_f64 v[187:188], v[145:146], s[4:5], -v[181:182]
	v_add_f64 v[20:21], v[187:188], v[20:21]
	v_mul_f64 v[187:188], v[167:168], s[28:29]
	v_fma_f64 v[179:180], v[147:148], s[4:5], v[187:188]
	v_add_f64 v[22:23], v[179:180], v[22:23]
	v_fma_f64 v[179:180], v[145:146], s[4:5], v[181:182]
	v_add_f64 v[24:25], v[179:180], v[24:25]
	v_fma_f64 v[179:180], v[147:148], s[4:5], -v[187:188]
	v_add_f64 v[26:27], v[179:180], v[26:27]
	v_mul_f64 v[179:180], v[173:174], s[24:25]
	v_mul_f64 v[173:174], v[173:174], s[36:37]
	v_fma_f64 v[181:182], v[145:146], s[16:17], -v[179:180]
	v_fma_f64 v[179:180], v[145:146], s[16:17], v[179:180]
	v_add_f64 v[28:29], v[181:182], v[28:29]
	v_mul_f64 v[181:182], v[167:168], s[24:25]
	v_add_f64 v[36:37], v[179:180], v[36:37]
	v_mul_f64 v[167:168], v[167:168], s[36:37]
	v_fma_f64 v[179:180], v[147:148], s[16:17], -v[181:182]
	v_fma_f64 v[187:188], v[147:148], s[16:17], v[181:182]
	v_add_f64 v[38:39], v[179:180], v[38:39]
	v_fma_f64 v[179:180], v[145:146], s[14:15], -v[173:174]
	v_fma_f64 v[173:174], v[145:146], s[14:15], v[173:174]
	v_add_f64 v[30:31], v[187:188], v[30:31]
	v_add_f64 v[80:81], v[179:180], v[80:81]
	v_fma_f64 v[179:180], v[147:148], s[14:15], v[167:168]
	v_fma_f64 v[167:168], v[147:148], s[14:15], -v[167:168]
	v_add_f64 v[88:89], v[173:174], v[88:89]
	v_add_f64 v[82:83], v[179:180], v[82:83]
	;; [unrolled: 1-line block ×3, first 2 shown]
	s_and_saveexec_b64 s[24:25], vcc
	s_cbranch_execz .LBB0_7
; %bb.6:
	v_add_f64 v[92:93], v[92:93], v[32:33]
	v_add_f64 v[94:95], v[94:95], v[34:35]
	v_mul_f64 v[179:180], v[185:186], s[22:23]
	v_mul_f64 v[187:188], v[209:210], s[18:19]
	v_add_f64 v[92:93], v[96:97], v[92:93]
	v_add_f64 v[94:95], v[98:99], v[94:95]
	;; [unrolled: 1-line block ×4, first 2 shown]
	v_mul_f64 v[201:202], v[118:119], s[18:19]
	v_add_f64 v[92:93], v[100:101], v[92:93]
	v_add_f64 v[94:95], v[102:103], v[94:95]
	;; [unrolled: 1-line block ×5, first 2 shown]
	v_mul_f64 v[92:93], v[147:148], s[20:21]
	v_add_f64 v[98:99], v[110:111], v[94:95]
	buffer_load_dword v110, off, s[60:63], 0 offset:196 ; 4-byte Folded Reload
	buffer_load_dword v111, off, s[60:63], 0 offset:200 ; 4-byte Folded Reload
	v_add_f64 v[84:85], v[84:85], v[102:103]
	v_add_f64 v[96:97], v[177:178], v[92:93]
	v_mul_f64 v[92:93], v[118:119], s[2:3]
	v_mul_f64 v[177:178], v[183:184], s[22:23]
	v_add_f64 v[86:87], v[86:87], v[98:99]
	v_add_f64 v[40:41], v[40:41], v[84:85]
	;; [unrolled: 1-line block ×3, first 2 shown]
	v_mul_f64 v[92:93], v[235:236], s[14:15]
	v_add_f64 v[42:43], v[42:43], v[86:87]
	v_add_f64 v[40:41], v[44:45], v[40:41]
	;; [unrolled: 1-line block ×3, first 2 shown]
	buffer_load_dword v135, off, s[60:63], 0 offset:100 ; 4-byte Folded Reload
	buffer_load_dword v136, off, s[60:63], 0 offset:104 ; 4-byte Folded Reload
	;; [unrolled: 1-line block ×4, first 2 shown]
	v_mul_f64 v[92:93], v[209:210], s[22:23]
	buffer_load_dword v167, off, s[60:63], 0 offset:172 ; 4-byte Folded Reload
	buffer_load_dword v168, off, s[60:63], 0 offset:176 ; 4-byte Folded Reload
	v_add_f64 v[42:43], v[46:47], v[42:43]
	v_add_f64 v[40:41], v[48:49], v[40:41]
	v_add_f64 v[104:105], v[253:254], v[92:93]
	v_mul_f64 v[92:93], v[185:186], s[4:5]
	v_add_f64 v[42:43], v[50:51], v[42:43]
	v_add_f64 v[40:41], v[52:53], v[40:41]
	v_add_f64 v[106:107], v[223:224], v[92:93]
	v_mul_f64 v[92:93], v[163:164], s[10:11]
	;; [unrolled: 4-line block ×3, first 2 shown]
	v_add_f64 v[42:43], v[42:43], v[58:59]
	v_add_f64 v[40:41], v[40:41], v[60:61]
	v_mul_f64 v[199:200], v[235:236], s[16:17]
	v_add_f64 v[42:43], v[42:43], v[62:63]
	v_add_f64 v[40:41], v[40:41], v[64:65]
	;; [unrolled: 1-line block ×5, first 2 shown]
	s_waitcnt vmcnt(6)
	v_add_f64 v[110:111], v[110:111], v[92:93]
	v_mul_f64 v[92:93], v[125:126], s[16:17]
	v_add_f64 v[40:41], v[40:41], v[72:73]
	v_add_f64 v[58:59], v[42:43], v[74:75]
	s_waitcnt vmcnt(4)
	v_add_f64 v[135:136], v[135:136], v[92:93]
	v_mul_f64 v[92:93], v[145:146], s[20:21]
	v_add_f64 v[135:136], v[34:35], v[135:136]
	v_add_f64 v[92:93], v[92:93], -v[175:176]
	v_add_f64 v[110:111], v[110:111], v[135:136]
	v_mul_f64 v[135:136], v[116:117], s[2:3]
	v_add_f64 v[108:109], v[108:109], v[110:111]
	v_add_f64 v[135:136], v[135:136], -v[159:160]
	v_mul_f64 v[159:160], v[122:123], s[16:17]
	v_mul_f64 v[110:111], v[161:162], s[10:11]
	v_add_f64 v[106:107], v[106:107], v[108:109]
	s_waitcnt vmcnt(2)
	v_add_f64 v[159:160], v[159:160], -v[165:166]
	v_mul_f64 v[165:166], v[137:138], s[18:19]
	v_add_f64 v[110:111], v[110:111], -v[197:198]
	v_add_f64 v[104:105], v[104:105], v[106:107]
	v_mul_f64 v[106:107], v[233:234], s[14:15]
	v_add_f64 v[108:109], v[32:33], v[159:160]
	s_waitcnt vmcnt(0)
	v_add_f64 v[165:166], v[165:166], -v[167:168]
	v_mul_f64 v[159:160], v[183:184], s[4:5]
	v_mul_f64 v[167:168], v[137:138], s[10:11]
	v_add_f64 v[100:101], v[100:101], v[104:105]
	v_add_f64 v[106:107], v[106:107], -v[133:134]
	v_add_f64 v[108:109], v[165:166], v[108:109]
	v_add_f64 v[159:160], v[159:160], -v[221:222]
	v_mul_f64 v[165:166], v[209:210], s[10:11]
	v_add_f64 v[100:101], v[94:95], v[100:101]
	v_add_f64 v[108:109], v[110:111], v[108:109]
	v_mul_f64 v[110:111], v[207:208], s[22:23]
	v_add_f64 v[165:166], v[231:232], v[165:166]
	v_add_f64 v[96:97], v[96:97], v[100:101]
	;; [unrolled: 1-line block ×3, first 2 shown]
	v_add_f64 v[110:111], v[110:111], -v[247:248]
	v_add_f64 v[108:109], v[110:111], v[108:109]
	v_mul_f64 v[110:111], v[163:164], s[16:17]
	v_add_f64 v[104:105], v[106:107], v[108:109]
	buffer_load_dword v108, off, s[60:63], 0 offset:84 ; 4-byte Folded Reload
	buffer_load_dword v109, off, s[60:63], 0 offset:88 ; 4-byte Folded Reload
	;; [unrolled: 1-line block ×4, first 2 shown]
	v_mul_f64 v[106:107], v[125:126], s[14:15]
	v_add_f64 v[110:111], v[193:194], v[110:111]
	v_mul_f64 v[193:194], v[207:208], s[10:11]
	v_add_f64 v[94:95], v[135:136], v[104:105]
	v_mul_f64 v[104:105], v[185:186], s[2:3]
	v_add_f64 v[193:194], v[193:194], -v[229:230]
	v_add_f64 v[94:95], v[92:93], v[94:95]
	v_add_f64 v[104:105], v[217:218], v[104:105]
	s_waitcnt vmcnt(2)
	v_add_f64 v[106:107], v[108:109], v[106:107]
	v_mul_f64 v[108:109], v[139:140], s[22:23]
	v_add_f64 v[106:107], v[34:35], v[106:107]
	s_waitcnt vmcnt(0)
	v_add_f64 v[108:109], v[133:134], v[108:109]
	v_add_f64 v[106:107], v[108:109], v[106:107]
	v_mul_f64 v[108:109], v[209:210], s[4:5]
	v_add_f64 v[106:107], v[110:111], v[106:107]
	buffer_load_dword v110, off, s[60:63], 0 offset:236 ; 4-byte Folded Reload
	buffer_load_dword v111, off, s[60:63], 0 offset:240 ; 4-byte Folded Reload
	v_add_f64 v[108:109], v[245:246], v[108:109]
	v_add_f64 v[104:105], v[104:105], v[106:107]
	v_mul_f64 v[106:107], v[235:236], s[18:19]
	v_add_f64 v[104:105], v[108:109], v[104:105]
	v_add_f64 v[106:107], v[131:132], v[106:107]
	buffer_load_dword v131, off, s[60:63], 0 offset:76 ; 4-byte Folded Reload
	buffer_load_dword v132, off, s[60:63], 0 offset:80 ; 4-byte Folded Reload
	;; [unrolled: 1-line block ×4, first 2 shown]
	v_mul_f64 v[108:109], v[118:119], s[20:21]
	buffer_load_dword v135, off, s[60:63], 0 offset:68 ; 4-byte Folded Reload
	buffer_load_dword v136, off, s[60:63], 0 offset:72 ; 4-byte Folded Reload
	v_add_f64 v[104:105], v[106:107], v[104:105]
	v_mul_f64 v[106:107], v[147:148], s[10:11]
	v_add_f64 v[108:109], v[153:154], v[108:109]
	buffer_load_dword v153, off, s[60:63], 0 offset:148 ; 4-byte Folded Reload
	buffer_load_dword v154, off, s[60:63], 0 offset:152 ; 4-byte Folded Reload
	;; [unrolled: 1-line block ×10, first 2 shown]
	v_add_f64 v[106:107], v[171:172], v[106:107]
	v_mul_f64 v[171:172], v[161:162], s[20:21]
	v_add_f64 v[104:105], v[108:109], v[104:105]
	v_mul_f64 v[108:109], v[161:162], s[16:17]
	v_add_f64 v[100:101], v[106:107], v[104:105]
	v_add_f64 v[106:107], v[112:113], v[199:200]
	s_waitcnt vmcnt(16)
	v_add_f64 v[108:109], v[108:109], -v[110:111]
	v_mul_f64 v[110:111], v[122:123], s[14:15]
	s_waitcnt vmcnt(14)
	v_add_f64 v[110:111], v[110:111], -v[131:132]
	v_mul_f64 v[131:132], v[137:138], s[22:23]
	v_add_f64 v[110:111], v[32:33], v[110:111]
	s_waitcnt vmcnt(12)
	v_add_f64 v[131:132], v[131:132], -v[133:134]
	v_mul_f64 v[133:134], v[125:126], s[4:5]
	v_add_f64 v[110:111], v[131:132], v[110:111]
	v_mul_f64 v[131:132], v[183:184], s[2:3]
	s_waitcnt vmcnt(10)
	v_add_f64 v[133:134], v[135:136], v[133:134]
	v_mul_f64 v[135:136], v[139:140], s[20:21]
	v_add_f64 v[108:109], v[108:109], v[110:111]
	v_add_f64 v[131:132], v[131:132], -v[211:212]
	v_mul_f64 v[110:111], v[207:208], s[4:5]
	s_waitcnt vmcnt(8)
	v_add_f64 v[135:136], v[153:154], v[135:136]
	v_mul_f64 v[153:154], v[163:164], s[22:23]
	v_add_f64 v[133:134], v[34:35], v[133:134]
	v_add_f64 v[108:109], v[131:132], v[108:109]
	v_mul_f64 v[131:132], v[233:234], s[18:19]
	v_add_f64 v[110:111], v[110:111], -v[241:242]
	s_waitcnt vmcnt(6)
	v_add_f64 v[153:154], v[159:160], v[153:154]
	v_add_f64 v[133:134], v[135:136], v[133:134]
	v_mul_f64 v[159:160], v[125:126], s[2:3]
	v_mul_f64 v[125:126], v[125:126], s[10:11]
	;; [unrolled: 1-line block ×3, first 2 shown]
	v_add_f64 v[129:130], v[131:132], -v[129:130]
	v_mul_f64 v[131:132], v[116:117], s[20:21]
	v_add_f64 v[108:109], v[110:111], v[108:109]
	v_mul_f64 v[110:111], v[122:123], s[2:3]
	v_add_f64 v[133:134], v[153:154], v[133:134]
	v_mul_f64 v[153:154], v[118:119], s[14:15]
	s_waitcnt vmcnt(2)
	v_add_f64 v[125:126], v[175:176], v[125:126]
	v_mul_f64 v[175:176], v[185:186], s[14:15]
	v_add_f64 v[135:136], v[135:136], -v[169:170]
	v_add_f64 v[131:132], v[131:132], -v[151:152]
	v_mul_f64 v[151:152], v[185:186], s[16:17]
	v_add_f64 v[108:109], v[129:130], v[108:109]
	v_mul_f64 v[129:130], v[122:123], s[10:11]
	v_mul_f64 v[122:123], v[122:123], s[4:5]
	v_add_f64 v[149:150], v[149:150], v[153:154]
	v_mul_f64 v[153:154], v[137:138], s[14:15]
	v_mul_f64 v[137:138], v[137:138], s[20:21]
	;; [unrolled: 1-line block ×3, first 2 shown]
	v_add_f64 v[151:152], v[205:206], v[151:152]
	v_add_f64 v[108:109], v[131:132], v[108:109]
	v_mul_f64 v[131:132], v[235:236], s[2:3]
	v_add_f64 v[122:123], v[122:123], -v[173:174]
	v_mul_f64 v[173:174], v[183:184], s[14:15]
	v_mul_f64 v[139:140], v[139:140], s[14:15]
	s_waitcnt vmcnt(0)
	v_add_f64 v[137:138], v[137:138], -v[181:182]
	v_add_f64 v[125:126], v[34:35], v[125:126]
	v_add_f64 v[133:134], v[151:152], v[133:134]
	v_mul_f64 v[151:152], v[183:184], s[16:17]
	buffer_load_dword v183, off, s[60:63], 0 offset:220 ; 4-byte Folded Reload
	buffer_load_dword v184, off, s[60:63], 0 offset:224 ; 4-byte Folded Reload
	v_add_f64 v[114:115], v[114:115], v[131:132]
	v_mul_f64 v[131:132], v[161:162], s[4:5]
	v_mul_f64 v[161:162], v[161:162], s[22:23]
	v_add_f64 v[122:123], v[32:33], v[122:123]
	buffer_load_dword v185, off, s[60:63], 0 offset:132 ; 4-byte Folded Reload
	buffer_load_dword v186, off, s[60:63], 0 offset:136 ; 4-byte Folded Reload
	v_add_f64 v[133:134], v[165:166], v[133:134]
	v_add_f64 v[151:152], v[151:152], -v[203:204]
	buffer_load_dword v197, off, s[60:63], 0 offset:212 ; 4-byte Folded Reload
	buffer_load_dword v198, off, s[60:63], 0 offset:216 ; 4-byte Folded Reload
	v_mul_f64 v[203:204], v[233:234], s[2:3]
	v_mul_f64 v[165:166], v[163:164], s[4:5]
	;; [unrolled: 1-line block ×3, first 2 shown]
	v_add_f64 v[122:123], v[137:138], v[122:123]
	v_mul_f64 v[181:182], v[207:208], s[16:17]
	v_add_f64 v[104:105], v[114:115], v[133:134]
	v_mul_f64 v[137:138], v[233:234], s[20:21]
	v_mul_f64 v[118:119], v[118:119], s[4:5]
	v_add_f64 v[102:103], v[203:204], -v[225:226]
	v_mul_f64 v[205:206], v[145:146], s[22:23]
	v_add_f64 v[104:105], v[149:150], v[104:105]
	v_add_f64 v[118:119], v[249:250], v[118:119]
	s_waitcnt vmcnt(4)
	v_add_f64 v[161:162], v[161:162], -v[183:184]
	v_mul_f64 v[183:184], v[209:210], s[16:17]
	s_waitcnt vmcnt(2)
	v_add_f64 v[139:140], v[185:186], v[139:140]
	v_mul_f64 v[185:186], v[207:208], s[18:19]
	v_mul_f64 v[207:208], v[145:146], s[2:3]
	v_add_f64 v[122:123], v[161:162], v[122:123]
	s_waitcnt vmcnt(0)
	v_add_f64 v[163:164], v[197:198], v[163:164]
	v_mul_f64 v[161:162], v[116:117], s[18:19]
	v_mul_f64 v[197:198], v[235:236], s[20:21]
	v_mul_f64 v[145:146], v[145:146], s[18:19]
	v_add_f64 v[125:126], v[139:140], v[125:126]
	v_mul_f64 v[139:140], v[233:234], s[16:17]
	v_add_f64 v[56:57], v[207:208], -v[141:142]
	v_add_f64 v[122:123], v[151:152], v[122:123]
	v_mul_f64 v[151:152], v[147:148], s[22:23]
	v_add_f64 v[84:85], v[145:146], -v[155:156]
	v_add_f64 v[125:126], v[163:164], v[125:126]
	v_mul_f64 v[163:164], v[116:117], s[4:5]
	v_mul_f64 v[116:117], v[116:117], s[14:15]
	v_add_f64 v[114:115], v[193:194], v[122:123]
	v_add_f64 v[125:126], v[179:180], v[125:126]
	v_mul_f64 v[179:180], v[147:148], s[2:3]
	v_add_f64 v[86:87], v[116:117], -v[251:252]
	v_add_f64 v[102:103], v[102:103], v[114:115]
	buffer_load_dword v114, off, s[60:63], 0 offset:12 ; 4-byte Folded Reload
	buffer_load_dword v115, off, s[60:63], 0 offset:16 ; 4-byte Folded Reload
	;; [unrolled: 1-line block ×6, first 2 shown]
	v_mul_f64 v[147:148], v[147:148], s[18:19]
	v_add_f64 v[112:113], v[187:188], v[125:126]
	v_add_f64 v[98:99], v[157:158], v[147:148]
	;; [unrolled: 1-line block ×6, first 2 shown]
	s_waitcnt vmcnt(4)
	v_add_f64 v[114:115], v[114:115], v[159:160]
	s_waitcnt vmcnt(2)
	v_add_f64 v[44:45], v[110:111], -v[44:45]
	s_waitcnt vmcnt(0)
	v_add_f64 v[46:47], v[129:130], -v[46:47]
	buffer_load_dword v110, off, s[60:63], 0 offset:44 ; 4-byte Folded Reload
	buffer_load_dword v111, off, s[60:63], 0 offset:48 ; 4-byte Folded Reload
	;; [unrolled: 1-line block ×4, first 2 shown]
	v_add_f64 v[34:35], v[34:35], v[114:115]
	buffer_load_dword v114, off, s[60:63], 0 offset:28 ; 4-byte Folded Reload
	buffer_load_dword v115, off, s[60:63], 0 offset:32 ; 4-byte Folded Reload
	v_add_f64 v[44:45], v[32:33], v[44:45]
	v_add_f64 v[32:33], v[32:33], v[46:47]
	buffer_load_dword v46, off, s[60:63], 0 offset:124 ; 4-byte Folded Reload
	buffer_load_dword v47, off, s[60:63], 0 offset:128 ; 4-byte Folded Reload
	buffer_load_dword v48, off, s[60:63], 0 offset:116 ; 4-byte Folded Reload
	buffer_load_dword v49, off, s[60:63], 0 offset:120 ; 4-byte Folded Reload
	buffer_load_dword v50, off, s[60:63], 0 offset:108 ; 4-byte Folded Reload
	buffer_load_dword v51, off, s[60:63], 0 offset:112 ; 4-byte Folded Reload
	buffer_load_dword v52, off, s[60:63], 0 offset:204 ; 4-byte Folded Reload
	buffer_load_dword v53, off, s[60:63], 0 offset:208 ; 4-byte Folded Reload
	buffer_load_dword v54, off, s[60:63], 0 offset:188 ; 4-byte Folded Reload
	buffer_load_dword v55, off, s[60:63], 0 offset:192 ; 4-byte Folded Reload
	s_waitcnt vmcnt(14)
	v_add_f64 v[110:111], v[153:154], -v[110:111]
	s_waitcnt vmcnt(12)
	v_add_f64 v[116:117], v[116:117], v[169:170]
	s_waitcnt vmcnt(10)
	v_add_f64 v[114:115], v[167:168], -v[114:115]
	v_add_f64 v[32:33], v[110:111], v[32:33]
	v_add_f64 v[34:35], v[116:117], v[34:35]
	s_waitcnt vmcnt(6)
	v_add_f64 v[48:49], v[48:49], v[165:166]
	s_waitcnt vmcnt(4)
	v_add_f64 v[50:51], v[131:132], -v[50:51]
	v_add_f64 v[46:47], v[171:172], -v[46:47]
	s_waitcnt vmcnt(0)
	v_add_f64 v[54:55], v[54:55], v[175:176]
	v_add_f64 v[44:45], v[114:115], v[44:45]
	v_add_f64 v[52:53], v[177:178], -v[52:53]
	v_add_f64 v[34:35], v[48:49], v[34:35]
	buffer_load_dword v48, off, s[60:63], 0 offset:180 ; 4-byte Folded Reload
	buffer_load_dword v49, off, s[60:63], 0 offset:184 ; 4-byte Folded Reload
	v_add_f64 v[32:33], v[46:47], v[32:33]
	v_add_f64 v[46:47], v[185:186], -v[195:196]
	v_add_f64 v[44:45], v[50:51], v[44:45]
	v_add_f64 v[50:51], v[191:192], v[183:184]
	;; [unrolled: 1-line block ×3, first 2 shown]
	buffer_load_dword v54, off, s[60:63], 0 offset:244 ; 4-byte Folded Reload
	buffer_load_dword v55, off, s[60:63], 0 offset:248 ; 4-byte Folded Reload
	v_add_f64 v[32:33], v[52:53], v[32:33]
	v_add_f64 v[52:53], v[215:216], v[197:198]
	;; [unrolled: 1-line block ×3, first 2 shown]
	v_add_f64 v[50:51], v[137:138], -v[213:214]
	v_add_f64 v[32:33], v[46:47], v[32:33]
	v_add_f64 v[46:47], v[163:164], -v[243:244]
	v_add_f64 v[34:35], v[52:53], v[34:35]
	v_add_f64 v[52:53], v[161:162], -v[237:238]
	s_waitcnt vmcnt(2)
	v_add_f64 v[48:49], v[173:174], -v[48:49]
	s_waitcnt vmcnt(0)
	v_add_f64 v[54:55], v[181:182], -v[54:55]
	v_add_f64 v[44:45], v[48:49], v[44:45]
	v_add_f64 v[48:49], v[139:140], -v[219:220]
	v_add_f64 v[44:45], v[54:55], v[44:45]
	v_add_f64 v[54:55], v[239:240], v[201:202]
	;; [unrolled: 1-line block ×6, first 2 shown]
	v_add_f64 v[54:55], v[205:206], -v[120:121]
	v_add_f64 v[32:33], v[46:47], v[32:33]
	v_add_f64 v[34:35], v[98:99], v[104:105]
	;; [unrolled: 1-line block ×11, first 2 shown]
	v_mul_lo_u16_e32 v52, 17, v255
	v_add_lshl_u32 v52, v190, v52, 4
	ds_write_b128 v52, v[48:51]
	ds_write_b128 v52, v[44:47] offset:16
	ds_write_b128 v52, v[40:43] offset:32
	;; [unrolled: 1-line block ×16, first 2 shown]
.LBB0_7:
	s_or_b64 exec, exec, s[24:25]
	v_mov_b32_e32 v33, s9
	s_movk_i32 s4, 0x50
	v_mov_b32_e32 v32, s8
	v_mad_u64_u32 v[56:57], s[4:5], v255, s4, v[32:33]
	s_load_dwordx4 s[0:3], s[0:1], 0x0
	s_waitcnt lgkmcnt(0)
	s_barrier
	global_load_dwordx4 v[32:35], v[56:57], off
	global_load_dwordx4 v[44:47], v[56:57], off offset:16
	global_load_dwordx4 v[40:43], v[56:57], off offset:32
	;; [unrolled: 1-line block ×4, first 2 shown]
	v_add_lshl_u32 v191, v190, v255, 4
	ds_read_b128 v[56:59], v191
	ds_read_b128 v[60:63], v191 offset:272
	ds_read_b128 v[64:67], v191 offset:544
	;; [unrolled: 1-line block ×5, first 2 shown]
	s_mov_b32 s4, 0xe8584caa
	s_mov_b32 s5, 0x3febb67a
	s_mov_b32 s9, 0xbfebb67a
	s_mov_b32 s8, s4
	s_waitcnt vmcnt(4) lgkmcnt(4)
	v_mul_f64 v[84:85], v[62:63], v[34:35]
	v_mul_f64 v[86:87], v[60:61], v[34:35]
	s_waitcnt vmcnt(2) lgkmcnt(2)
	v_mul_f64 v[94:95], v[70:71], v[42:43]
	v_mul_f64 v[96:97], v[68:69], v[42:43]
	;; [unrolled: 3-line block ×3, first 2 shown]
	v_mul_f64 v[92:93], v[66:67], v[46:47]
	v_mul_f64 v[102:103], v[64:65], v[46:47]
	s_waitcnt vmcnt(0)
	v_mul_f64 v[104:105], v[74:75], v[54:55]
	v_mul_f64 v[106:107], v[72:73], v[54:55]
	v_fma_f64 v[68:69], v[68:69], v[40:41], -v[94:95]
	v_fma_f64 v[70:71], v[70:71], v[40:41], v[96:97]
	v_fma_f64 v[78:79], v[78:79], v[48:49], v[98:99]
	v_fma_f64 v[76:77], v[76:77], v[48:49], -v[100:101]
	v_fma_f64 v[64:65], v[64:65], v[44:45], -v[92:93]
	;; [unrolled: 1-line block ×3, first 2 shown]
	v_fma_f64 v[62:63], v[62:63], v[32:33], v[86:87]
	v_fma_f64 v[66:67], v[66:67], v[44:45], v[102:103]
	v_fma_f64 v[72:73], v[72:73], v[52:53], -v[104:105]
	v_fma_f64 v[74:75], v[74:75], v[52:53], v[106:107]
	v_add_f64 v[84:85], v[70:71], v[78:79]
	v_add_f64 v[86:87], v[68:69], v[76:77]
	;; [unrolled: 1-line block ×3, first 2 shown]
	v_add_f64 v[100:101], v[70:71], -v[78:79]
	v_add_f64 v[102:103], v[68:69], -v[76:77]
	v_add_f64 v[98:99], v[58:59], v[66:67]
	v_add_f64 v[94:95], v[64:65], v[72:73]
	v_add_f64 v[96:97], v[66:67], -v[74:75]
	v_fma_f64 v[84:85], v[84:85], -0.5, v[62:63]
	v_fma_f64 v[86:87], v[86:87], -0.5, v[60:61]
	v_add_f64 v[66:67], v[66:67], v[74:75]
	v_add_f64 v[64:65], v[64:65], -v[72:73]
	v_add_f64 v[60:61], v[60:61], v[68:69]
	v_add_f64 v[62:63], v[62:63], v[70:71]
	;; [unrolled: 1-line block ×4, first 2 shown]
	v_fma_f64 v[70:71], v[102:103], s[8:9], v[84:85]
	v_fma_f64 v[72:73], v[100:101], s[8:9], v[86:87]
	;; [unrolled: 1-line block ×4, first 2 shown]
	v_fma_f64 v[58:59], v[66:67], -0.5, v[58:59]
	v_add_f64 v[60:61], v[60:61], v[76:77]
	v_add_f64 v[62:63], v[62:63], v[78:79]
	v_fma_f64 v[56:57], v[94:95], -0.5, v[56:57]
	v_mul_f64 v[66:67], v[70:71], s[4:5]
	v_mul_f64 v[76:77], v[72:73], -0.5
	v_mul_f64 v[78:79], v[86:87], s[8:9]
	v_mul_f64 v[92:93], v[84:85], -0.5
	v_fma_f64 v[98:99], v[64:65], s[8:9], v[58:59]
	v_fma_f64 v[100:101], v[64:65], s[4:5], v[58:59]
	v_add_f64 v[58:59], v[74:75], v[62:63]
	v_add_f64 v[62:63], v[74:75], -v[62:63]
	v_fma_f64 v[86:87], v[86:87], 0.5, v[66:67]
	v_fma_f64 v[76:77], v[84:85], s[4:5], v[76:77]
	v_fma_f64 v[78:79], v[70:71], 0.5, v[78:79]
	v_fma_f64 v[84:85], v[72:73], s[8:9], v[92:93]
	v_fma_f64 v[94:95], v[96:97], s[4:5], v[56:57]
	;; [unrolled: 1-line block ×3, first 2 shown]
	v_add_f64 v[56:57], v[68:69], v[60:61]
	v_add_f64 v[60:61], v[68:69], -v[60:61]
	v_add_f64 v[66:67], v[98:99], v[78:79]
	v_add_f64 v[70:71], v[100:101], v[84:85]
	v_add_f64 v[74:75], v[98:99], -v[78:79]
	v_add_f64 v[78:79], v[100:101], -v[84:85]
	buffer_load_dword v84, off, s[60:63], 0 ; 4-byte Folded Reload
	v_add_f64 v[64:65], v[94:95], v[86:87]
	v_add_f64 v[68:69], v[96:97], v[76:77]
	v_add_f64 v[72:73], v[94:95], -v[86:87]
	v_add_f64 v[76:77], v[96:97], -v[76:77]
	s_waitcnt vmcnt(0)
	v_lshl_add_u32 v190, v255, 4, v84
	ds_write_b128 v190, v[56:59]
	ds_write_b128 v190, v[60:63] offset:816
	ds_write_b128 v190, v[64:67] offset:272
	;; [unrolled: 1-line block ×5, first 2 shown]
	s_waitcnt lgkmcnt(0)
	s_barrier
	s_and_saveexec_b64 s[4:5], vcc
	s_cbranch_execz .LBB0_9
; %bb.8:
	global_load_dwordx4 v[92:95], v189, s[6:7] offset:1632
	ds_read_b128 v[84:87], v190
	s_add_u32 s8, s6, 0x660
	s_addc_u32 s9, s7, 0
	s_waitcnt vmcnt(0) lgkmcnt(0)
	v_mul_f64 v[96:97], v[86:87], v[94:95]
	v_fma_f64 v[96:97], v[84:85], v[92:93], -v[96:97]
	v_mul_f64 v[84:85], v[84:85], v[94:95]
	v_fma_f64 v[98:99], v[86:87], v[92:93], v[84:85]
	global_load_dwordx4 v[92:95], v189, s[8:9] offset:96
	ds_read_b128 v[84:87], v190 offset:96
	ds_write_b128 v190, v[96:99]
	s_waitcnt vmcnt(0) lgkmcnt(1)
	v_mul_f64 v[96:97], v[86:87], v[94:95]
	v_fma_f64 v[96:97], v[84:85], v[92:93], -v[96:97]
	v_mul_f64 v[84:85], v[84:85], v[94:95]
	v_fma_f64 v[98:99], v[86:87], v[92:93], v[84:85]
	global_load_dwordx4 v[92:95], v189, s[8:9] offset:192
	ds_read_b128 v[84:87], v190 offset:192
	ds_write_b128 v190, v[96:99] offset:96
	s_waitcnt vmcnt(0) lgkmcnt(1)
	v_mul_f64 v[96:97], v[86:87], v[94:95]
	v_fma_f64 v[96:97], v[84:85], v[92:93], -v[96:97]
	v_mul_f64 v[84:85], v[84:85], v[94:95]
	v_fma_f64 v[98:99], v[86:87], v[92:93], v[84:85]
	global_load_dwordx4 v[92:95], v189, s[8:9] offset:288
	ds_read_b128 v[84:87], v190 offset:288
	ds_write_b128 v190, v[96:99] offset:192
	;; [unrolled: 8-line block ×15, first 2 shown]
	s_waitcnt vmcnt(0) lgkmcnt(1)
	v_mul_f64 v[96:97], v[86:87], v[94:95]
	v_fma_f64 v[96:97], v[84:85], v[92:93], -v[96:97]
	v_mul_f64 v[84:85], v[84:85], v[94:95]
	v_fma_f64 v[98:99], v[86:87], v[92:93], v[84:85]
	ds_write_b128 v190, v[96:99] offset:1536
.LBB0_9:
	s_or_b64 exec, exec, s[4:5]
	s_waitcnt lgkmcnt(0)
	s_barrier
	s_and_saveexec_b64 s[4:5], vcc
	s_cbranch_execz .LBB0_11
; %bb.10:
	ds_read_b128 v[56:59], v190
	ds_read_b128 v[64:67], v190 offset:96
	ds_read_b128 v[68:71], v190 offset:192
	;; [unrolled: 1-line block ×16, first 2 shown]
.LBB0_11:
	s_or_b64 exec, exec, s[4:5]
	s_waitcnt lgkmcnt(0)
	s_barrier
	s_and_saveexec_b64 s[4:5], vcc
	s_cbranch_execz .LBB0_13
; %bb.12:
	v_add_f64 v[187:188], v[64:65], -v[0:1]
	s_mov_b32 s18, 0xacd6c6b4
	s_mov_b32 s19, 0xbfc7851a
	v_add_f64 v[185:186], v[68:69], -v[4:5]
	v_add_f64 v[141:142], v[66:67], v[2:3]
	s_mov_b32 s38, 0x5d8e7cdc
	s_mov_b32 s14, 0x7faef3
	;; [unrolled: 1-line block ×3, first 2 shown]
	v_mul_f64 v[86:87], v[187:188], s[18:19]
	s_mov_b32 s15, 0xbfef7484
	v_add_f64 v[151:152], v[60:61], -v[8:9]
	v_mul_f64 v[94:95], v[185:186], s[38:39]
	v_add_f64 v[137:138], v[70:71], v[6:7]
	s_mov_b32 s24, 0x4363dd80
	s_mov_b32 s20, 0x370991
	;; [unrolled: 1-line block ×3, first 2 shown]
	v_fma_f64 v[96:97], v[141:142], s[14:15], v[86:87]
	s_mov_b32 s21, 0x3fedd6d0
	v_add_f64 v[149:150], v[72:73], -v[12:13]
	v_mul_f64 v[98:99], v[151:152], s[24:25]
	v_add_f64 v[139:140], v[62:63], v[10:11]
	v_fma_f64 v[100:101], v[137:138], s[20:21], v[94:95]
	s_mov_b32 s46, 0x2a9d6da3
	s_mov_b32 s16, 0x910ea3b9
	v_add_f64 v[96:97], v[58:59], v[96:97]
	s_mov_b32 s47, 0x3fe58eea
	s_mov_b32 s17, 0xbfeb34fa
	v_add_f64 v[147:148], v[76:77], -v[16:17]
	v_mul_f64 v[102:103], v[149:150], s[46:47]
	v_add_f64 v[135:136], v[74:75], v[14:15]
	v_fma_f64 v[104:105], v[139:140], s[16:17], v[98:99]
	s_mov_b32 s28, 0x6c9a05f6
	v_add_f64 v[96:97], v[100:101], v[96:97]
	s_mov_b32 s22, 0x75d4884
	s_mov_b32 s29, 0xbfe9895b
	;; [unrolled: 1-line block ×3, first 2 shown]
	v_add_f64 v[143:144], v[20:21], -v[24:25]
	v_mul_f64 v[100:101], v[147:148], s[28:29]
	v_add_f64 v[133:134], v[78:79], v[18:19]
	v_fma_f64 v[106:107], v[135:136], s[22:23], v[102:103]
	v_add_f64 v[96:97], v[104:105], v[96:97]
	v_add_f64 v[161:162], v[66:67], -v[2:3]
	s_mov_b32 s42, 0x7c9e640b
	s_mov_b32 s26, 0x6ed5f1bb
	;; [unrolled: 1-line block ×4, first 2 shown]
	v_mul_f64 v[104:105], v[143:144], s[42:43]
	v_add_f64 v[131:132], v[22:23], v[26:27]
	v_fma_f64 v[108:109], v[133:134], s[26:27], v[100:101]
	v_add_f64 v[96:97], v[106:107], v[96:97]
	v_add_f64 v[159:160], v[70:71], -v[6:7]
	v_add_f64 v[157:158], v[64:65], v[0:1]
	v_mul_f64 v[106:107], v[161:162], s[18:19]
	s_mov_b32 s34, 0x2b2883cd
	s_mov_b32 s35, 0x3fdc86fa
	v_fma_f64 v[110:111], v[131:132], s[34:35], v[104:105]
	v_add_f64 v[163:164], v[62:63], -v[10:11]
	v_add_f64 v[96:97], v[108:109], v[96:97]
	v_add_f64 v[155:156], v[68:69], v[4:5]
	v_mul_f64 v[108:109], v[159:160], s[38:39]
	v_fma_f64 v[112:113], v[157:158], s[14:15], -v[106:107]
	v_add_f64 v[167:168], v[74:75], -v[14:15]
	v_add_f64 v[153:154], v[60:61], v[8:9]
	v_add_f64 v[169:170], v[78:79], -v[18:19]
	v_fma_f64 v[86:87], v[141:142], s[14:15], -v[86:87]
	v_add_f64 v[96:97], v[110:111], v[96:97]
	v_mul_f64 v[110:111], v[163:164], s[24:25]
	v_fma_f64 v[116:117], v[155:156], s[20:21], -v[108:109]
	v_add_f64 v[112:113], v[56:57], v[112:113]
	v_add_f64 v[165:166], v[72:73], v[12:13]
	v_mul_f64 v[118:119], v[167:168], s[46:47]
	v_fma_f64 v[106:107], v[157:158], s[14:15], v[106:107]
	v_add_f64 v[183:184], v[22:23], -v[26:27]
	v_fma_f64 v[94:95], v[137:138], s[20:21], -v[94:95]
	v_fma_f64 v[120:121], v[153:154], s[16:17], -v[110:111]
	v_add_f64 v[86:87], v[58:59], v[86:87]
	v_add_f64 v[112:113], v[116:117], v[112:113]
	;; [unrolled: 1-line block ×3, first 2 shown]
	v_mul_f64 v[116:117], v[169:170], s[28:29]
	v_fma_f64 v[122:123], v[165:166], s[22:23], -v[118:119]
	v_fma_f64 v[108:109], v[155:156], s[20:21], v[108:109]
	v_add_f64 v[106:107], v[56:57], v[106:107]
	v_add_f64 v[129:130], v[28:29], -v[36:37]
	v_fma_f64 v[98:99], v[139:140], s[16:17], -v[98:99]
	v_add_f64 v[112:113], v[120:121], v[112:113]
	v_add_f64 v[86:87], v[94:95], v[86:87]
	;; [unrolled: 1-line block ×3, first 2 shown]
	v_mul_f64 v[94:95], v[183:184], s[42:43]
	v_fma_f64 v[120:121], v[181:182], s[26:27], -v[116:117]
	v_fma_f64 v[110:111], v[153:154], s[16:17], v[110:111]
	v_add_f64 v[106:107], v[108:109], v[106:107]
	s_mov_b32 s10, 0x923c349f
	v_add_f64 v[112:113], v[122:123], v[112:113]
	s_mov_b32 s11, 0xbfeec746
	v_add_f64 v[127:128], v[80:81], -v[88:89]
	v_mul_f64 v[84:85], v[129:130], s[10:11]
	v_add_f64 v[145:146], v[30:31], v[38:39]
	v_add_f64 v[177:178], v[30:31], -v[38:39]
	v_fma_f64 v[102:103], v[135:136], s[22:23], -v[102:103]
	v_add_f64 v[86:87], v[98:99], v[86:87]
	v_fma_f64 v[108:109], v[179:180], s[34:35], -v[94:95]
	v_add_f64 v[112:113], v[120:121], v[112:113]
	v_fma_f64 v[118:119], v[165:166], s[22:23], v[118:119]
	v_add_f64 v[106:107], v[110:111], v[106:107]
	s_mov_b32 s50, 0xeb564b22
	s_mov_b32 s30, 0xc61f0d01
	;; [unrolled: 1-line block ×4, first 2 shown]
	v_add_f64 v[125:126], v[82:83], v[90:91]
	v_mul_f64 v[92:93], v[127:128], s[50:51]
	v_fma_f64 v[114:115], v[145:146], s[30:31], v[84:85]
	v_add_f64 v[173:174], v[82:83], -v[90:91]
	v_add_f64 v[175:176], v[28:29], v[36:37]
	v_mul_f64 v[98:99], v[177:178], s[10:11]
	v_fma_f64 v[100:101], v[133:134], s[26:27], -v[100:101]
	v_add_f64 v[86:87], v[102:103], v[86:87]
	v_add_f64 v[108:109], v[108:109], v[112:113]
	v_fma_f64 v[112:113], v[181:182], s[26:27], v[116:117]
	v_add_f64 v[106:107], v[118:119], v[106:107]
	s_mov_b32 s8, 0x3259b75e
	s_mov_b32 s9, 0x3fb79ee6
	v_add_f64 v[171:172], v[80:81], v[88:89]
	v_mul_f64 v[102:103], v[173:174], s[50:51]
	v_fma_f64 v[110:111], v[175:176], s[30:31], -v[98:99]
	v_fma_f64 v[104:105], v[131:132], s[34:35], -v[104:105]
	v_add_f64 v[86:87], v[100:101], v[86:87]
	v_fma_f64 v[100:101], v[125:126], s[8:9], v[92:93]
	v_add_f64 v[96:97], v[114:115], v[96:97]
	v_fma_f64 v[94:95], v[179:180], s[34:35], v[94:95]
	v_add_f64 v[106:107], v[112:113], v[106:107]
	v_fma_f64 v[114:115], v[171:172], s[8:9], -v[102:103]
	v_add_f64 v[108:109], v[110:111], v[108:109]
	v_fma_f64 v[110:111], v[145:146], s[30:31], -v[84:85]
	v_add_f64 v[104:105], v[104:105], v[86:87]
	v_mul_f64 v[118:119], v[185:186], s[42:43]
	v_add_f64 v[86:87], v[100:101], v[96:97]
	v_fma_f64 v[96:97], v[175:176], s[30:31], v[98:99]
	v_add_f64 v[94:95], v[94:95], v[106:107]
	v_mul_f64 v[192:193], v[159:160], s[42:43]
	v_add_f64 v[84:85], v[114:115], v[108:109]
	v_mul_f64 v[114:115], v[161:162], s[24:25]
	s_mov_b32 s41, 0xbfefdd0d
	s_mov_b32 s40, s50
	v_mul_f64 v[196:197], v[151:152], s[40:41]
	v_fma_f64 v[198:199], v[137:138], s[34:35], v[118:119]
	v_add_f64 v[94:95], v[96:97], v[94:95]
	v_mul_f64 v[96:97], v[187:188], s[24:25]
	v_mul_f64 v[200:201], v[163:164], s[40:41]
	v_fma_f64 v[194:195], v[157:158], s[16:17], -v[114:115]
	v_fma_f64 v[202:203], v[155:156], s[34:35], -v[192:193]
	v_fma_f64 v[114:115], v[157:158], s[16:17], v[114:115]
	s_mov_b32 s55, 0x3fe9895b
	s_mov_b32 s54, s28
	v_mul_f64 v[122:123], v[149:150], s[54:55]
	v_fma_f64 v[120:121], v[141:142], s[16:17], v[96:97]
	v_fma_f64 v[96:97], v[141:142], s[16:17], -v[96:97]
	v_add_f64 v[194:195], v[56:57], v[194:195]
	v_fma_f64 v[206:207], v[139:140], s[8:9], v[196:197]
	v_fma_f64 v[208:209], v[153:154], s[8:9], -v[200:201]
	v_fma_f64 v[118:119], v[137:138], s[34:35], -v[118:119]
	v_fma_f64 v[192:193], v[155:156], s[34:35], v[192:193]
	v_add_f64 v[114:115], v[56:57], v[114:115]
	v_add_f64 v[120:121], v[58:59], v[120:121]
	;; [unrolled: 1-line block ×4, first 2 shown]
	s_mov_b32 s37, 0xbfd71e95
	s_mov_b32 s36, s38
	v_mul_f64 v[106:107], v[147:148], s[36:37]
	v_fma_f64 v[204:205], v[135:136], s[26:27], v[122:123]
	v_mul_f64 v[202:203], v[169:170], s[36:37]
	v_add_f64 v[120:121], v[198:199], v[120:121]
	v_mul_f64 v[198:199], v[167:168], s[54:55]
	v_add_f64 v[194:195], v[208:209], v[194:195]
	v_fma_f64 v[196:197], v[139:140], s[8:9], -v[196:197]
	v_add_f64 v[96:97], v[118:119], v[96:97]
	v_fma_f64 v[118:119], v[153:154], s[8:9], v[200:201]
	v_add_f64 v[114:115], v[192:193], v[114:115]
	v_add_f64 v[98:99], v[110:111], v[104:105]
	;; [unrolled: 1-line block ×3, first 2 shown]
	v_fma_f64 v[206:207], v[165:166], s[26:27], -v[198:199]
	v_mul_f64 v[104:105], v[143:144], s[18:19]
	v_fma_f64 v[116:117], v[133:134], s[20:21], v[106:107]
	v_mul_f64 v[192:193], v[183:184], s[18:19]
	v_fma_f64 v[200:201], v[181:182], s[20:21], -v[202:203]
	v_fma_f64 v[122:123], v[135:136], s[26:27], -v[122:123]
	v_add_f64 v[96:97], v[196:197], v[96:97]
	v_add_f64 v[120:121], v[204:205], v[120:121]
	;; [unrolled: 1-line block ×3, first 2 shown]
	v_fma_f64 v[196:197], v[165:166], s[26:27], v[198:199]
	v_add_f64 v[114:115], v[118:119], v[114:115]
	v_mul_f64 v[100:101], v[129:130], s[46:47]
	v_fma_f64 v[112:113], v[131:132], s[14:15], v[104:105]
	v_mul_f64 v[118:119], v[177:178], s[46:47]
	v_fma_f64 v[106:107], v[133:134], s[20:21], -v[106:107]
	v_add_f64 v[116:117], v[116:117], v[120:121]
	v_fma_f64 v[120:121], v[179:180], s[14:15], -v[192:193]
	v_add_f64 v[194:195], v[200:201], v[194:195]
	v_add_f64 v[96:97], v[122:123], v[96:97]
	v_fma_f64 v[122:123], v[181:182], s[20:21], v[202:203]
	v_add_f64 v[114:115], v[196:197], v[114:115]
	v_fma_f64 v[110:111], v[145:146], s[22:23], v[100:101]
	v_fma_f64 v[196:197], v[175:176], s[22:23], -v[118:119]
	v_add_f64 v[112:113], v[112:113], v[116:117]
	v_mul_f64 v[116:117], v[173:174], s[10:11]
	v_add_f64 v[120:121], v[120:121], v[194:195]
	v_add_f64 v[96:97], v[106:107], v[96:97]
	v_fma_f64 v[106:107], v[179:180], s[14:15], v[192:193]
	v_add_f64 v[114:115], v[122:123], v[114:115]
	v_fma_f64 v[92:93], v[125:126], s[8:9], -v[92:93]
	v_fma_f64 v[102:103], v[171:172], s[8:9], v[102:103]
	v_mul_f64 v[108:109], v[127:128], s[10:11]
	v_fma_f64 v[104:105], v[131:132], s[14:15], -v[104:105]
	v_add_f64 v[110:111], v[110:111], v[112:113]
	v_fma_f64 v[112:113], v[171:172], s[30:31], -v[116:117]
	v_add_f64 v[120:121], v[196:197], v[120:121]
	v_fma_f64 v[118:119], v[175:176], s[22:23], v[118:119]
	v_add_f64 v[106:107], v[106:107], v[114:115]
	v_add_f64 v[98:99], v[92:93], v[98:99]
	v_fma_f64 v[122:123], v[125:126], s[30:31], v[108:109]
	v_add_f64 v[104:105], v[104:105], v[96:97]
	v_add_f64 v[96:97], v[102:103], v[94:95]
	v_fma_f64 v[102:103], v[125:126], s[30:31], -v[108:109]
	v_add_f64 v[92:93], v[112:113], v[120:121]
	v_mul_f64 v[112:113], v[187:188], s[28:29]
	v_add_f64 v[108:109], v[118:119], v[106:107]
	v_mul_f64 v[118:119], v[161:162], s[28:29]
	s_mov_b32 s53, 0x3feec746
	s_mov_b32 s52, s10
	v_mul_f64 v[120:121], v[185:186], s[52:53]
	v_mul_f64 v[196:197], v[159:160], s[52:53]
	;; [unrolled: 1-line block ×3, first 2 shown]
	v_fma_f64 v[192:193], v[141:142], s[26:27], v[112:113]
	v_fma_f64 v[112:113], v[141:142], s[26:27], -v[112:113]
	v_fma_f64 v[198:199], v[157:158], s[26:27], -v[118:119]
	v_mul_f64 v[206:207], v[163:164], s[36:37]
	v_fma_f64 v[100:101], v[145:146], s[22:23], -v[100:101]
	v_fma_f64 v[204:205], v[137:138], s[30:31], v[120:121]
	v_fma_f64 v[208:209], v[155:156], s[30:31], -v[196:197]
	v_fma_f64 v[120:121], v[137:138], s[30:31], -v[120:121]
	v_add_f64 v[192:193], v[58:59], v[192:193]
	v_add_f64 v[112:113], v[58:59], v[112:113]
	;; [unrolled: 1-line block ×3, first 2 shown]
	v_mul_f64 v[210:211], v[149:150], s[24:25]
	v_fma_f64 v[212:213], v[139:140], s[20:21], v[202:203]
	v_fma_f64 v[214:215], v[153:154], s[20:21], -v[206:207]
	v_fma_f64 v[202:203], v[139:140], s[20:21], -v[202:203]
	v_fma_f64 v[118:119], v[157:158], s[26:27], v[118:119]
	v_add_f64 v[192:193], v[204:205], v[192:193]
	v_mul_f64 v[204:205], v[167:168], s[24:25]
	v_add_f64 v[198:199], v[208:209], v[198:199]
	v_add_f64 v[112:113], v[120:121], v[112:113]
	;; [unrolled: 1-line block ×3, first 2 shown]
	v_fma_f64 v[104:105], v[171:172], s[30:31], v[116:117]
	v_mul_f64 v[116:117], v[147:148], s[50:51]
	v_fma_f64 v[208:209], v[135:136], s[16:17], v[210:211]
	v_add_f64 v[120:121], v[212:213], v[192:193]
	v_mul_f64 v[192:193], v[169:170], s[50:51]
	v_fma_f64 v[212:213], v[165:166], s[16:17], -v[204:205]
	v_add_f64 v[198:199], v[214:215], v[198:199]
	v_fma_f64 v[210:211], v[135:136], s[16:17], -v[210:211]
	v_fma_f64 v[196:197], v[155:156], s[30:31], v[196:197]
	v_add_f64 v[118:119], v[56:57], v[118:119]
	v_add_f64 v[112:113], v[202:203], v[112:113]
	s_mov_b32 s45, 0xbfe58eea
	s_mov_b32 s44, s46
	v_mul_f64 v[114:115], v[143:144], s[44:45]
	v_fma_f64 v[200:201], v[133:134], s[8:9], v[116:117]
	v_add_f64 v[120:121], v[208:209], v[120:121]
	v_mul_f64 v[202:203], v[183:184], s[44:45]
	v_fma_f64 v[208:209], v[181:182], s[8:9], -v[192:193]
	v_add_f64 v[198:199], v[212:213], v[198:199]
	v_fma_f64 v[116:117], v[133:134], s[8:9], -v[116:117]
	v_fma_f64 v[206:207], v[153:154], s[20:21], v[206:207]
	v_add_f64 v[118:119], v[196:197], v[118:119]
	v_add_f64 v[112:113], v[210:211], v[112:113]
	;; [unrolled: 1-line block ×3, first 2 shown]
	v_mul_f64 v[110:111], v[129:130], s[18:19]
	v_fma_f64 v[194:195], v[131:132], s[22:23], v[114:115]
	v_add_f64 v[120:121], v[200:201], v[120:121]
	v_mul_f64 v[196:197], v[177:178], s[18:19]
	v_fma_f64 v[200:201], v[179:180], s[22:23], -v[202:203]
	v_add_f64 v[198:199], v[208:209], v[198:199]
	v_fma_f64 v[114:115], v[131:132], s[22:23], -v[114:115]
	v_fma_f64 v[204:205], v[165:166], s[16:17], v[204:205]
	v_add_f64 v[118:119], v[206:207], v[118:119]
	v_add_f64 v[112:113], v[116:117], v[112:113]
	v_mul_f64 v[106:107], v[127:128], s[42:43]
	v_fma_f64 v[122:123], v[145:146], s[14:15], v[110:111]
	v_add_f64 v[116:117], v[194:195], v[120:121]
	v_mul_f64 v[120:121], v[173:174], s[42:43]
	v_fma_f64 v[194:195], v[175:176], s[14:15], -v[196:197]
	v_add_f64 v[198:199], v[200:201], v[198:199]
	v_fma_f64 v[110:111], v[145:146], s[14:15], -v[110:111]
	v_fma_f64 v[192:193], v[181:182], s[8:9], v[192:193]
	v_add_f64 v[118:119], v[204:205], v[118:119]
	v_add_f64 v[112:113], v[114:115], v[112:113]
	v_fma_f64 v[114:115], v[125:126], s[34:35], v[106:107]
	v_add_f64 v[116:117], v[122:123], v[116:117]
	v_fma_f64 v[122:123], v[171:172], s[34:35], -v[120:121]
	v_add_f64 v[194:195], v[194:195], v[198:199]
	v_fma_f64 v[200:201], v[179:180], s[22:23], v[202:203]
	s_mov_b32 s57, 0x3fe0d888
	v_add_f64 v[118:119], v[192:193], v[118:119]
	v_add_f64 v[110:111], v[110:111], v[112:113]
	v_mul_f64 v[112:113], v[187:188], s[10:11]
	s_mov_b32 s56, s24
	v_fma_f64 v[198:199], v[125:126], s[34:35], -v[106:107]
	v_add_f64 v[106:107], v[102:103], v[100:101]
	v_add_f64 v[104:105], v[104:105], v[108:109]
	v_add_f64 v[102:103], v[114:115], v[116:117]
	v_add_f64 v[100:101], v[122:123], v[194:195]
	v_fma_f64 v[108:109], v[175:176], s[14:15], v[196:197]
	v_add_f64 v[114:115], v[200:201], v[118:119]
	v_mul_f64 v[116:117], v[185:186], s[56:57]
	v_fma_f64 v[118:119], v[171:172], s[34:35], v[120:121]
	v_mul_f64 v[120:121], v[161:162], s[10:11]
	v_fma_f64 v[122:123], v[141:142], s[30:31], v[112:113]
	v_add_f64 v[110:111], v[198:199], v[110:111]
	v_mul_f64 v[198:199], v[159:160], s[56:57]
	s_mov_b32 s49, 0xbfeca52d
	v_add_f64 v[108:109], v[108:109], v[114:115]
	v_mul_f64 v[114:115], v[151:152], s[46:47]
	v_fma_f64 v[196:197], v[137:138], s[16:17], v[116:117]
	v_fma_f64 v[200:201], v[157:158], s[30:31], -v[120:121]
	v_add_f64 v[122:123], v[58:59], v[122:123]
	s_mov_b32 s48, s42
	v_mul_f64 v[202:203], v[149:150], s[48:49]
	v_mul_f64 v[206:207], v[163:164], s[46:47]
	v_fma_f64 v[208:209], v[155:156], s[16:17], -v[198:199]
	v_fma_f64 v[204:205], v[139:140], s[22:23], v[114:115]
	v_mul_f64 v[210:211], v[147:148], s[18:19]
	v_add_f64 v[200:201], v[56:57], v[200:201]
	v_add_f64 v[122:123], v[196:197], v[122:123]
	v_mul_f64 v[214:215], v[167:168], s[48:49]
	v_fma_f64 v[212:213], v[135:136], s[34:35], v[202:203]
	v_fma_f64 v[216:217], v[153:154], s[22:23], -v[206:207]
	v_fma_f64 v[112:113], v[141:142], s[30:31], -v[112:113]
	v_mul_f64 v[218:219], v[169:170], s[18:19]
	v_fma_f64 v[116:117], v[137:138], s[16:17], -v[116:117]
	v_add_f64 v[200:201], v[208:209], v[200:201]
	v_add_f64 v[122:123], v[204:205], v[122:123]
	v_mul_f64 v[204:205], v[143:144], s[50:51]
	v_fma_f64 v[208:209], v[133:134], s[14:15], v[210:211]
	v_fma_f64 v[220:221], v[165:166], s[34:35], -v[214:215]
	v_add_f64 v[112:113], v[58:59], v[112:113]
	v_mul_f64 v[194:195], v[129:130], s[36:37]
	v_fma_f64 v[222:223], v[181:182], s[14:15], -v[218:219]
	v_add_f64 v[200:201], v[216:217], v[200:201]
	v_add_f64 v[122:123], v[212:213], v[122:123]
	v_fma_f64 v[212:213], v[131:132], s[8:9], v[204:205]
	v_mul_f64 v[216:217], v[183:184], s[50:51]
	v_fma_f64 v[114:115], v[139:140], s[22:23], -v[114:115]
	v_fma_f64 v[120:121], v[157:158], s[30:31], v[120:121]
	v_add_f64 v[112:113], v[116:117], v[112:113]
	v_mul_f64 v[192:193], v[127:128], s[28:29]
	v_add_f64 v[116:117], v[220:221], v[200:201]
	v_add_f64 v[122:123], v[208:209], v[122:123]
	v_fma_f64 v[196:197], v[145:146], s[20:21], v[194:195]
	v_mul_f64 v[200:201], v[177:178], s[36:37]
	v_fma_f64 v[208:209], v[179:180], s[8:9], -v[216:217]
	v_fma_f64 v[202:203], v[135:136], s[34:35], -v[202:203]
	v_fma_f64 v[198:199], v[155:156], s[16:17], v[198:199]
	v_add_f64 v[120:121], v[56:57], v[120:121]
	v_add_f64 v[112:113], v[114:115], v[112:113]
	;; [unrolled: 1-line block ×4, first 2 shown]
	v_mul_f64 v[122:123], v[173:174], s[28:29]
	v_fma_f64 v[212:213], v[175:176], s[20:21], -v[200:201]
	v_fma_f64 v[210:211], v[133:134], s[14:15], -v[210:211]
	v_fma_f64 v[206:207], v[153:154], s[22:23], v[206:207]
	v_add_f64 v[120:121], v[198:199], v[120:121]
	v_add_f64 v[112:113], v[202:203], v[112:113]
	v_add_f64 v[114:115], v[208:209], v[114:115]
	v_fma_f64 v[198:199], v[125:126], s[26:27], v[192:193]
	v_add_f64 v[116:117], v[196:197], v[116:117]
	v_fma_f64 v[196:197], v[171:172], s[26:27], -v[122:123]
	v_fma_f64 v[202:203], v[131:132], s[8:9], -v[204:205]
	v_fma_f64 v[204:205], v[165:166], s[34:35], v[214:215]
	v_add_f64 v[120:121], v[206:207], v[120:121]
	v_add_f64 v[112:113], v[210:211], v[112:113]
	;; [unrolled: 1-line block ×5, first 2 shown]
	v_fma_f64 v[116:117], v[145:146], s[20:21], -v[194:195]
	v_mul_f64 v[194:195], v[187:188], s[40:41]
	v_fma_f64 v[118:119], v[181:182], s[14:15], v[218:219]
	v_add_f64 v[120:121], v[204:205], v[120:121]
	v_add_f64 v[198:199], v[202:203], v[112:113]
	v_add_f64 v[112:113], v[196:197], v[206:207]
	v_mul_f64 v[202:203], v[161:162], s[40:41]
	v_mul_f64 v[204:205], v[185:186], s[18:19]
	v_fma_f64 v[196:197], v[179:180], s[8:9], v[216:217]
	v_fma_f64 v[206:207], v[141:142], s[8:9], v[194:195]
	v_mul_f64 v[212:213], v[163:164], s[52:53]
	v_add_f64 v[118:119], v[118:119], v[120:121]
	v_add_f64 v[116:117], v[116:117], v[198:199]
	v_fma_f64 v[120:121], v[175:176], s[20:21], v[200:201]
	v_mul_f64 v[198:199], v[151:152], s[52:53]
	v_mul_f64 v[200:201], v[159:160], s[18:19]
	v_fma_f64 v[208:209], v[157:158], s[8:9], -v[202:203]
	v_fma_f64 v[210:211], v[137:138], s[14:15], v[204:205]
	v_add_f64 v[206:207], v[58:59], v[206:207]
	v_add_f64 v[118:119], v[196:197], v[118:119]
	v_fma_f64 v[196:197], v[171:172], s[26:27], v[122:123]
	v_mul_f64 v[122:123], v[149:150], s[38:39]
	v_fma_f64 v[216:217], v[139:140], s[30:31], v[198:199]
	v_fma_f64 v[214:215], v[155:156], s[14:15], -v[200:201]
	v_add_f64 v[208:209], v[56:57], v[208:209]
	v_fma_f64 v[194:195], v[141:142], s[8:9], -v[194:195]
	v_add_f64 v[206:207], v[210:211], v[206:207]
	v_add_f64 v[118:119], v[120:121], v[118:119]
	v_mul_f64 v[120:121], v[147:148], s[48:49]
	v_mul_f64 v[210:211], v[167:168], s[38:39]
	v_fma_f64 v[218:219], v[153:154], s[30:31], -v[212:213]
	v_fma_f64 v[204:205], v[137:138], s[14:15], -v[204:205]
	v_add_f64 v[208:209], v[214:215], v[208:209]
	v_fma_f64 v[214:215], v[135:136], s[20:21], v[122:123]
	v_add_f64 v[206:207], v[216:217], v[206:207]
	v_add_f64 v[194:195], v[58:59], v[194:195]
	v_mul_f64 v[216:217], v[143:144], s[24:25]
	v_mul_f64 v[220:221], v[169:170], s[48:49]
	v_fma_f64 v[222:223], v[165:166], s[20:21], -v[210:211]
	v_fma_f64 v[198:199], v[139:140], s[30:31], -v[198:199]
	v_add_f64 v[208:209], v[218:219], v[208:209]
	v_fma_f64 v[218:219], v[133:134], s[34:35], v[120:121]
	;; [unrolled: 8-line block ×3, first 2 shown]
	v_add_f64 v[206:207], v[218:219], v[206:207]
	v_add_f64 v[194:195], v[198:199], v[194:195]
	v_mul_f64 v[218:219], v[127:128], s[46:47]
	v_mul_f64 v[198:199], v[177:178], s[54:55]
	v_fma_f64 v[226:227], v[179:180], s[16:17], -v[204:205]
	v_fma_f64 v[202:203], v[157:158], s[8:9], v[202:203]
	v_add_f64 v[208:209], v[224:225], v[208:209]
	v_fma_f64 v[224:225], v[145:146], s[26:27], v[214:215]
	v_add_f64 v[206:207], v[222:223], v[206:207]
	v_fma_f64 v[120:121], v[133:134], s[34:35], -v[120:121]
	v_add_f64 v[122:123], v[122:123], v[194:195]
	v_fma_f64 v[192:193], v[125:126], s[26:27], -v[192:193]
	v_mul_f64 v[194:195], v[173:174], s[46:47]
	v_fma_f64 v[222:223], v[175:176], s[26:27], -v[198:199]
	v_add_f64 v[208:209], v[226:227], v[208:209]
	v_fma_f64 v[226:227], v[125:126], s[22:23], v[218:219]
	v_fma_f64 v[200:201], v[155:156], s[14:15], v[200:201]
	v_add_f64 v[202:203], v[56:57], v[202:203]
	v_fma_f64 v[216:217], v[131:132], s[16:17], -v[216:217]
	v_add_f64 v[120:121], v[120:121], v[122:123]
	v_add_f64 v[206:207], v[224:225], v[206:207]
	v_fma_f64 v[224:225], v[171:172], s[22:23], -v[194:195]
	v_add_f64 v[208:209], v[222:223], v[208:209]
	v_add_f64 v[122:123], v[192:193], v[116:117]
	v_fma_f64 v[192:193], v[153:154], s[30:31], v[212:213]
	v_add_f64 v[200:201], v[200:201], v[202:203]
	v_fma_f64 v[202:203], v[145:146], s[26:27], -v[214:215]
	v_add_f64 v[212:213], v[216:217], v[120:121]
	v_add_f64 v[120:121], v[196:197], v[118:119]
	;; [unrolled: 1-line block ×3, first 2 shown]
	v_mul_f64 v[206:207], v[187:188], s[48:49]
	v_add_f64 v[116:117], v[224:225], v[208:209]
	v_fma_f64 v[196:197], v[165:166], s[20:21], v[210:211]
	v_add_f64 v[192:193], v[192:193], v[200:201]
	v_mul_f64 v[208:209], v[161:162], s[48:49]
	v_add_f64 v[202:203], v[202:203], v[212:213]
	v_mul_f64 v[212:213], v[185:186], s[28:29]
	v_add_f64 v[66:67], v[66:67], v[58:59]
	v_fma_f64 v[214:215], v[141:142], s[34:35], v[206:207]
	v_add_f64 v[64:65], v[64:65], v[56:57]
	s_mov_b32 s51, 0x3fc7851a
	s_mov_b32 s50, s18
	v_fma_f64 v[200:201], v[125:126], s[22:23], -v[218:219]
	v_fma_f64 v[210:211], v[181:182], s[34:35], v[220:221]
	v_add_f64 v[192:193], v[196:197], v[192:193]
	v_mul_f64 v[216:217], v[159:160], s[28:29]
	v_fma_f64 v[196:197], v[157:158], s[34:35], -v[208:209]
	v_mul_f64 v[218:219], v[151:152], s[50:51]
	v_fma_f64 v[220:221], v[137:138], s[26:27], v[212:213]
	v_add_f64 v[214:215], v[58:59], v[214:215]
	v_add_f64 v[66:67], v[70:71], v[66:67]
	;; [unrolled: 1-line block ×3, first 2 shown]
	v_fma_f64 v[204:205], v[179:180], s[16:17], v[204:205]
	v_add_f64 v[192:193], v[210:211], v[192:193]
	v_mul_f64 v[210:211], v[163:164], s[50:51]
	v_fma_f64 v[222:223], v[155:156], s[26:27], -v[216:217]
	v_add_f64 v[196:197], v[56:57], v[196:197]
	v_mul_f64 v[224:225], v[149:150], s[52:53]
	v_fma_f64 v[226:227], v[139:140], s[14:15], v[218:219]
	v_add_f64 v[214:215], v[220:221], v[214:215]
	v_fma_f64 v[206:207], v[141:142], s[34:35], -v[206:207]
	v_add_f64 v[62:63], v[62:63], v[66:67]
	v_add_f64 v[60:61], v[60:61], v[64:65]
	v_add_f64 v[192:193], v[204:205], v[192:193]
	v_mul_f64 v[204:205], v[167:168], s[52:53]
	v_fma_f64 v[220:221], v[153:154], s[14:15], -v[210:211]
	v_add_f64 v[196:197], v[222:223], v[196:197]
	v_mul_f64 v[222:223], v[147:148], s[46:47]
	v_fma_f64 v[228:229], v[135:136], s[30:31], v[224:225]
	v_add_f64 v[214:215], v[226:227], v[214:215]
	v_fma_f64 v[212:213], v[137:138], s[26:27], -v[212:213]
	v_add_f64 v[206:207], v[58:59], v[206:207]
	v_add_f64 v[62:63], v[74:75], v[62:63]
	;; [unrolled: 10-line block ×3, first 2 shown]
	v_add_f64 v[76:77], v[76:77], v[60:61]
	v_fma_f64 v[234:235], v[181:182], s[22:23], -v[226:227]
	v_add_f64 v[196:197], v[230:231], v[196:197]
	v_mul_f64 v[212:213], v[129:130], s[40:41]
	v_fma_f64 v[230:231], v[131:132], s[20:21], v[220:221]
	v_add_f64 v[214:215], v[232:233], v[214:215]
	v_fma_f64 v[224:225], v[135:136], s[30:31], -v[224:225]
	v_add_f64 v[206:207], v[218:219], v[206:207]
	v_add_f64 v[22:23], v[22:23], v[62:63]
	;; [unrolled: 1-line block ×3, first 2 shown]
	v_fma_f64 v[198:199], v[175:176], s[26:27], v[198:199]
	v_mul_f64 v[228:229], v[183:184], s[36:37]
	v_add_f64 v[196:197], v[234:235], v[196:197]
	v_mul_f64 v[218:219], v[127:128], s[24:25]
	v_fma_f64 v[234:235], v[145:146], s[8:9], v[212:213]
	v_add_f64 v[214:215], v[230:231], v[214:215]
	v_fma_f64 v[222:223], v[133:134], s[22:23], -v[222:223]
	v_add_f64 v[206:207], v[224:225], v[206:207]
	v_add_f64 v[22:23], v[30:31], v[22:23]
	;; [unrolled: 1-line block ×3, first 2 shown]
	v_mul_f64 v[232:233], v[177:178], s[40:41]
	v_fma_f64 v[236:237], v[179:180], s[20:21], -v[228:229]
	v_fma_f64 v[224:225], v[171:172], s[22:23], v[194:195]
	v_add_f64 v[192:193], v[198:199], v[192:193]
	v_fma_f64 v[198:199], v[125:126], s[16:17], v[218:219]
	v_add_f64 v[214:215], v[234:235], v[214:215]
	v_fma_f64 v[220:221], v[131:132], s[20:21], -v[220:221]
	v_add_f64 v[206:207], v[222:223], v[206:207]
	v_add_f64 v[194:195], v[200:201], v[202:203]
	v_fma_f64 v[200:201], v[157:158], s[34:35], v[208:209]
	v_add_f64 v[22:23], v[82:83], v[22:23]
	v_add_f64 v[20:21], v[80:81], v[20:21]
	v_mul_f64 v[230:231], v[173:174], s[24:25]
	v_fma_f64 v[238:239], v[175:176], s[8:9], -v[232:233]
	v_add_f64 v[196:197], v[236:237], v[196:197]
	v_add_f64 v[198:199], v[198:199], v[214:215]
	v_fma_f64 v[202:203], v[145:146], s[8:9], -v[212:213]
	v_mul_f64 v[208:209], v[187:188], s[44:45]
	v_add_f64 v[206:207], v[220:221], v[206:207]
	v_fma_f64 v[212:213], v[155:156], s[26:27], v[216:217]
	v_mul_f64 v[214:215], v[161:162], s[44:45]
	v_add_f64 v[200:201], v[56:57], v[200:201]
	v_add_f64 v[22:23], v[90:91], v[22:23]
	;; [unrolled: 1-line block ×3, first 2 shown]
	v_fma_f64 v[234:235], v[171:172], s[16:17], -v[230:231]
	v_add_f64 v[196:197], v[238:239], v[196:197]
	v_fma_f64 v[216:217], v[125:126], s[16:17], -v[218:219]
	v_mul_f64 v[218:219], v[185:186], s[40:41]
	v_fma_f64 v[220:221], v[141:142], s[22:23], v[208:209]
	v_add_f64 v[202:203], v[202:203], v[206:207]
	v_fma_f64 v[206:207], v[153:154], s[14:15], v[210:211]
	v_mul_f64 v[210:211], v[159:160], s[40:41]
	v_fma_f64 v[222:223], v[157:158], s[22:23], -v[214:215]
	v_add_f64 v[200:201], v[212:213], v[200:201]
	v_add_f64 v[22:23], v[22:23], v[38:39]
	v_add_f64 v[20:21], v[36:37], v[20:21]
	v_add_f64 v[192:193], v[224:225], v[192:193]
	v_add_f64 v[196:197], v[234:235], v[196:197]
	v_fma_f64 v[224:225], v[137:138], s[8:9], v[218:219]
	v_add_f64 v[220:221], v[58:59], v[220:221]
	v_fma_f64 v[204:205], v[165:166], s[30:31], v[204:205]
	v_mul_f64 v[234:235], v[163:164], s[28:29]
	v_fma_f64 v[236:237], v[155:156], s[8:9], -v[210:211]
	v_add_f64 v[222:223], v[56:57], v[222:223]
	v_add_f64 v[200:201], v[206:207], v[200:201]
	v_fma_f64 v[208:209], v[141:142], s[22:23], -v[208:209]
	v_add_f64 v[22:23], v[22:23], v[26:27]
	v_add_f64 v[20:21], v[24:25], v[20:21]
	v_mul_f64 v[212:213], v[151:152], s[28:29]
	v_add_f64 v[220:221], v[224:225], v[220:221]
	v_fma_f64 v[224:225], v[181:182], s[22:23], v[226:227]
	v_mul_f64 v[226:227], v[167:168], s[18:19]
	v_fma_f64 v[240:241], v[153:154], s[26:27], -v[234:235]
	v_add_f64 v[222:223], v[236:237], v[222:223]
	v_add_f64 v[200:201], v[204:205], v[200:201]
	v_fma_f64 v[218:219], v[137:138], s[8:9], -v[218:219]
	v_add_f64 v[208:209], v[58:59], v[208:209]
	v_add_f64 v[18:19], v[22:23], v[18:19]
	;; [unrolled: 1-line block ×3, first 2 shown]
	v_mul_f64 v[206:207], v[149:150], s[18:19]
	v_fma_f64 v[238:239], v[139:140], s[26:27], v[212:213]
	v_fma_f64 v[242:243], v[165:166], s[14:15], -v[226:227]
	v_add_f64 v[222:223], v[240:241], v[222:223]
	v_add_f64 v[200:201], v[224:225], v[200:201]
	v_mul_f64 v[224:225], v[143:144], s[52:53]
	v_fma_f64 v[214:215], v[157:158], s[22:23], v[214:215]
	v_fma_f64 v[212:213], v[139:140], s[26:27], -v[212:213]
	v_mul_f64 v[187:188], v[187:188], s[36:37]
	v_add_f64 v[208:209], v[218:219], v[208:209]
	v_add_f64 v[14:15], v[18:19], v[14:15]
	;; [unrolled: 1-line block ×3, first 2 shown]
	v_mul_f64 v[204:205], v[147:148], s[56:57]
	v_fma_f64 v[236:237], v[135:136], s[14:15], v[206:207]
	v_add_f64 v[222:223], v[242:243], v[222:223]
	v_fma_f64 v[242:243], v[131:132], s[30:31], v[224:225]
	v_fma_f64 v[218:219], v[131:132], s[30:31], -v[224:225]
	v_fma_f64 v[210:211], v[155:156], s[8:9], v[210:211]
	v_add_f64 v[214:215], v[56:57], v[214:215]
	v_fma_f64 v[206:207], v[135:136], s[14:15], -v[206:207]
	v_mul_f64 v[185:186], v[185:186], s[44:45]
	v_fma_f64 v[224:225], v[141:142], s[20:21], v[187:188]
	v_add_f64 v[208:209], v[212:213], v[208:209]
	v_add_f64 v[10:11], v[14:15], v[10:11]
	;; [unrolled: 1-line block ×4, first 2 shown]
	v_fma_f64 v[228:229], v[179:180], s[20:21], v[228:229]
	v_mul_f64 v[238:239], v[169:170], s[56:57]
	v_fma_f64 v[240:241], v[133:134], s[16:17], v[204:205]
	v_fma_f64 v[204:205], v[133:134], s[16:17], -v[204:205]
	v_fma_f64 v[212:213], v[153:154], s[26:27], v[234:235]
	v_add_f64 v[210:211], v[210:211], v[214:215]
	v_mul_f64 v[151:152], v[151:152], s[48:49]
	v_fma_f64 v[214:215], v[137:138], s[22:23], v[185:186]
	v_add_f64 v[224:225], v[58:59], v[224:225]
	v_add_f64 v[206:207], v[206:207], v[208:209]
	;; [unrolled: 1-line block ×4, first 2 shown]
	v_fma_f64 v[244:245], v[181:182], s[16:17], -v[238:239]
	v_add_f64 v[200:201], v[228:229], v[200:201]
	v_mul_f64 v[228:229], v[129:130], s[42:43]
	v_fma_f64 v[208:209], v[165:166], s[14:15], v[226:227]
	v_add_f64 v[68:69], v[212:213], v[210:211]
	v_mul_f64 v[70:71], v[149:150], s[40:41]
	v_fma_f64 v[149:150], v[139:140], s[34:35], v[151:152]
	v_add_f64 v[210:211], v[214:215], v[224:225]
	v_add_f64 v[204:205], v[204:205], v[206:207]
	v_add_f64 v[8:9], v[6:7], v[2:3]
	v_add_f64 v[6:7], v[10:11], v[0:1]
	buffer_load_dword v0, off, s[60:63], 0  ; 4-byte Folded Reload
	v_add_f64 v[220:221], v[236:237], v[220:221]
	v_mul_f64 v[236:237], v[183:184], s[52:53]
	v_add_f64 v[222:223], v[244:245], v[222:223]
	v_fma_f64 v[244:245], v[145:146], s[34:35], v[228:229]
	v_fma_f64 v[228:229], v[145:146], s[34:35], -v[228:229]
	v_fma_f64 v[206:207], v[181:182], s[16:17], v[238:239]
	v_add_f64 v[64:65], v[208:209], v[68:69]
	v_mul_f64 v[66:67], v[147:148], s[10:11]
	v_add_f64 v[147:148], v[149:150], v[210:211]
	v_add_f64 v[149:150], v[218:219], v[204:205]
	v_mul_f64 v[28:29], v[161:162], s[36:37]
	v_fma_f64 v[232:233], v[175:176], s[8:9], v[232:233]
	v_add_f64 v[220:221], v[240:241], v[220:221]
	v_mul_f64 v[240:241], v[177:178], s[42:43]
	v_fma_f64 v[68:69], v[135:136], s[8:9], v[70:71]
	v_fma_f64 v[204:205], v[179:180], s[30:31], v[236:237]
	v_add_f64 v[64:65], v[206:207], v[64:65]
	v_mul_f64 v[72:73], v[143:144], s[28:29]
	v_add_f64 v[143:144], v[228:229], v[149:150]
	v_fma_f64 v[141:142], v[141:142], s[20:21], -v[187:188]
	v_mul_f64 v[149:150], v[159:160], s[44:45]
	v_fma_f64 v[80:81], v[157:158], s[20:21], v[28:29]
	v_fma_f64 v[28:29], v[157:158], s[20:21], -v[28:29]
	v_add_f64 v[200:201], v[232:233], v[200:201]
	v_mul_f64 v[232:233], v[127:128], s[38:39]
	v_add_f64 v[68:69], v[68:69], v[147:148]
	v_fma_f64 v[147:148], v[175:176], s[34:35], v[240:241]
	v_add_f64 v[64:65], v[204:205], v[64:65]
	v_mul_f64 v[82:83], v[163:164], s[48:49]
	v_fma_f64 v[137:138], v[137:138], s[22:23], -v[185:186]
	v_add_f64 v[58:59], v[58:59], v[141:142]
	v_fma_f64 v[141:142], v[155:156], s[22:23], v[149:150]
	v_add_f64 v[80:81], v[56:57], v[80:81]
	v_fma_f64 v[88:89], v[155:156], s[22:23], -v[149:150]
	v_add_f64 v[28:29], v[56:57], v[28:29]
	v_add_f64 v[202:203], v[216:217], v[202:203]
	v_fma_f64 v[216:217], v[125:126], s[20:21], v[232:233]
	v_fma_f64 v[232:233], v[125:126], s[20:21], -v[232:233]
	v_add_f64 v[62:63], v[147:148], v[64:65]
	v_mul_f64 v[147:148], v[167:168], s[40:41]
	v_fma_f64 v[56:57], v[139:140], s[34:35], -v[151:152]
	v_add_f64 v[58:59], v[137:138], v[58:59]
	v_fma_f64 v[90:91], v[153:154], s[34:35], v[82:83]
	v_add_f64 v[36:37], v[141:142], v[80:81]
	v_fma_f64 v[38:39], v[153:154], s[34:35], -v[82:83]
	v_add_f64 v[28:29], v[88:89], v[28:29]
	v_fma_f64 v[74:75], v[133:134], s[30:31], v[66:67]
	v_add_f64 v[60:61], v[232:233], v[143:144]
	v_mul_f64 v[143:144], v[169:170], s[10:11]
	v_fma_f64 v[70:71], v[135:136], s[8:9], -v[70:71]
	v_add_f64 v[56:57], v[56:57], v[58:59]
	v_fma_f64 v[58:59], v[165:166], s[8:9], v[147:148]
	v_add_f64 v[24:25], v[90:91], v[36:37]
	v_fma_f64 v[26:27], v[165:166], s[8:9], -v[147:148]
	v_add_f64 v[28:29], v[38:39], v[28:29]
	v_mul_f64 v[78:79], v[129:130], s[24:25]
	v_fma_f64 v[129:130], v[131:132], s[26:27], v[72:73]
	v_add_f64 v[68:69], v[74:75], v[68:69]
	v_mul_f64 v[30:31], v[183:184], s[28:29]
	v_fma_f64 v[36:37], v[133:134], s[30:31], -v[66:67]
	v_add_f64 v[38:39], v[70:71], v[56:57]
	v_fma_f64 v[56:57], v[181:182], s[30:31], v[143:144]
	v_add_f64 v[20:21], v[58:59], v[24:25]
	v_fma_f64 v[22:23], v[181:182], s[30:31], -v[143:144]
	v_add_f64 v[24:25], v[26:27], v[28:29]
	v_add_f64 v[68:69], v[129:130], v[68:69]
	v_mul_f64 v[129:130], v[177:178], s[24:25]
	v_fma_f64 v[26:27], v[131:132], s[26:27], -v[72:73]
	v_add_f64 v[28:29], v[36:37], v[38:39]
	v_fma_f64 v[36:37], v[179:180], s[26:27], v[30:31]
	v_add_f64 v[16:17], v[56:57], v[20:21]
	v_fma_f64 v[246:247], v[179:180], s[30:31], -v[236:237]
	v_fma_f64 v[18:19], v[179:180], s[26:27], -v[30:31]
	v_add_f64 v[20:21], v[22:23], v[24:25]
	v_mul_f64 v[64:65], v[127:128], s[18:19]
	v_mul_f64 v[127:128], v[173:174], s[18:19]
	v_fma_f64 v[22:23], v[145:146], s[16:17], -v[78:79]
	v_add_f64 v[24:25], v[26:27], v[28:29]
	v_fma_f64 v[26:27], v[175:176], s[16:17], v[129:130]
	v_add_f64 v[12:13], v[36:37], v[16:17]
	v_add_f64 v[220:221], v[242:243], v[220:221]
	v_mul_f64 v[242:243], v[173:174], s[38:39]
	v_fma_f64 v[230:231], v[171:172], s[16:17], v[230:231]
	v_fma_f64 v[248:249], v[175:176], s[34:35], -v[240:241]
	v_add_f64 v[222:223], v[246:247], v[222:223]
	v_fma_f64 v[76:77], v[145:146], s[16:17], v[78:79]
	v_fma_f64 v[14:15], v[175:176], s[16:17], -v[129:130]
	v_add_f64 v[16:17], v[18:19], v[20:21]
	v_fma_f64 v[18:19], v[125:126], s[14:15], -v[64:65]
	v_add_f64 v[20:21], v[22:23], v[24:25]
	v_fma_f64 v[22:23], v[171:172], s[14:15], v[127:128]
	v_add_f64 v[12:13], v[26:27], v[12:13]
	v_fma_f64 v[74:75], v[171:172], s[20:21], v[242:243]
	v_add_f64 v[200:201], v[230:231], v[200:201]
	v_add_f64 v[220:221], v[244:245], v[220:221]
	v_fma_f64 v[230:231], v[171:172], s[20:21], -v[242:243]
	v_add_f64 v[222:223], v[248:249], v[222:223]
	v_fma_f64 v[24:25], v[125:126], s[14:15], v[64:65]
	v_add_f64 v[26:27], v[76:77], v[68:69]
	v_fma_f64 v[28:29], v[171:172], s[14:15], -v[127:128]
	v_add_f64 v[14:15], v[14:15], v[16:17]
	v_add_f64 v[4:5], v[18:19], v[20:21]
	;; [unrolled: 1-line block ×4, first 2 shown]
	v_mul_lo_u16_e32 v1, 17, v255
	s_waitcnt vmcnt(0)
	v_lshl_add_u32 v0, v1, 4, v0
	v_add_f64 v[12:13], v[216:217], v[220:221]
	v_add_f64 v[10:11], v[230:231], v[222:223]
	;; [unrolled: 1-line block ×4, first 2 shown]
	ds_write_b128 v0, v[6:9]
	ds_write_b128 v0, v[2:5] offset:16
	ds_write_b128 v0, v[58:61] offset:32
	;; [unrolled: 1-line block ×16, first 2 shown]
.LBB0_13:
	s_or_b64 exec, exec, s[4:5]
	s_waitcnt lgkmcnt(0)
	s_barrier
	ds_read_b128 v[0:3], v191 offset:544
	ds_read_b128 v[4:7], v191 offset:1088
	;; [unrolled: 1-line block ×4, first 2 shown]
	ds_read_b128 v[16:19], v191
	ds_read_b128 v[20:23], v191 offset:272
	s_waitcnt lgkmcnt(5)
	v_mul_f64 v[24:25], v[46:47], v[2:3]
	s_waitcnt lgkmcnt(4)
	v_mul_f64 v[26:27], v[54:55], v[6:7]
	v_mul_f64 v[28:29], v[46:47], v[0:1]
	s_waitcnt lgkmcnt(3)
	v_mul_f64 v[30:31], v[42:43], v[8:9]
	s_waitcnt lgkmcnt(0)
	v_mul_f64 v[36:37], v[34:35], v[20:21]
	s_mov_b32 s4, 0xe8584caa
	s_mov_b32 s5, 0xbfebb67a
	;; [unrolled: 1-line block ×3, first 2 shown]
	v_fma_f64 v[0:1], v[44:45], v[0:1], v[24:25]
	v_fma_f64 v[24:25], v[52:53], v[4:5], v[26:27]
	v_mul_f64 v[4:5], v[54:55], v[4:5]
	v_mul_f64 v[26:27], v[50:51], v[12:13]
	v_fma_f64 v[2:3], v[44:45], v[2:3], -v[28:29]
	v_mul_f64 v[28:29], v[42:43], v[10:11]
	v_fma_f64 v[10:11], v[40:41], v[10:11], -v[30:31]
	v_mul_f64 v[30:31], v[50:51], v[14:15]
	s_mov_b32 s8, s4
	v_add_f64 v[38:39], v[0:1], v[24:25]
	v_fma_f64 v[4:5], v[52:53], v[6:7], -v[4:5]
	v_fma_f64 v[6:7], v[48:49], v[14:15], -v[26:27]
	v_mul_f64 v[14:15], v[34:35], v[22:23]
	v_fma_f64 v[22:23], v[32:33], v[22:23], -v[36:37]
	v_add_f64 v[26:27], v[16:17], v[0:1]
	v_fma_f64 v[8:9], v[40:41], v[8:9], v[28:29]
	v_fma_f64 v[12:13], v[48:49], v[12:13], v[30:31]
	v_fma_f64 v[16:17], v[38:39], -0.5, v[16:17]
	v_add_f64 v[28:29], v[2:3], -v[4:5]
	v_add_f64 v[30:31], v[10:11], v[6:7]
	v_fma_f64 v[14:15], v[32:33], v[20:21], v[14:15]
	v_add_f64 v[36:37], v[18:19], v[2:3]
	v_add_f64 v[20:21], v[26:27], v[24:25]
	v_add_f64 v[2:3], v[2:3], v[4:5]
	v_add_f64 v[26:27], v[8:9], v[12:13]
	v_add_f64 v[34:35], v[8:9], -v[12:13]
	v_fma_f64 v[32:33], v[28:29], s[4:5], v[16:17]
	v_fma_f64 v[30:31], v[30:31], -0.5, v[22:23]
	v_add_f64 v[38:39], v[10:11], -v[6:7]
	v_fma_f64 v[28:29], v[28:29], s[8:9], v[16:17]
	v_add_f64 v[10:11], v[22:23], v[10:11]
	v_fma_f64 v[2:3], v[2:3], -0.5, v[18:19]
	v_fma_f64 v[26:27], v[26:27], -0.5, v[14:15]
	v_add_f64 v[0:1], v[0:1], -v[24:25]
	v_fma_f64 v[16:17], v[34:35], s[8:9], v[30:31]
	v_fma_f64 v[30:31], v[34:35], s[4:5], v[30:31]
	v_add_f64 v[34:35], v[36:37], v[4:5]
	v_add_f64 v[4:5], v[14:15], v[8:9]
	;; [unrolled: 1-line block ×3, first 2 shown]
	v_fma_f64 v[8:9], v[38:39], s[4:5], v[26:27]
	v_fma_f64 v[14:15], v[38:39], s[8:9], v[26:27]
	;; [unrolled: 1-line block ×3, first 2 shown]
	v_mul_f64 v[18:19], v[16:17], s[4:5]
	v_mul_f64 v[16:17], v[16:17], 0.5
	v_mul_f64 v[24:25], v[30:31], s[4:5]
	v_mul_f64 v[22:23], v[30:31], -0.5
	v_add_f64 v[12:13], v[4:5], v[12:13]
	v_fma_f64 v[30:31], v[0:1], s[4:5], v[2:3]
	v_add_f64 v[2:3], v[34:35], v[36:37]
	v_fma_f64 v[18:19], v[8:9], 0.5, v[18:19]
	v_fma_f64 v[38:39], v[8:9], s[8:9], v[16:17]
	v_fma_f64 v[24:25], v[14:15], -0.5, v[24:25]
	v_fma_f64 v[22:23], v[14:15], s[8:9], v[22:23]
	v_add_f64 v[0:1], v[20:21], v[12:13]
	v_add_f64 v[12:13], v[20:21], -v[12:13]
	v_add_f64 v[14:15], v[34:35], -v[36:37]
	v_add_f64 v[4:5], v[32:33], v[18:19]
	v_add_f64 v[6:7], v[26:27], v[38:39]
	v_add_f64 v[8:9], v[28:29], v[24:25]
	v_add_f64 v[10:11], v[30:31], v[22:23]
	v_add_f64 v[16:17], v[32:33], -v[18:19]
	v_add_f64 v[18:19], v[26:27], -v[38:39]
	v_add_f64 v[20:21], v[28:29], -v[24:25]
	v_add_f64 v[22:23], v[30:31], -v[22:23]
	ds_write_b128 v190, v[0:3]
	ds_write_b128 v190, v[4:7] offset:272
	ds_write_b128 v190, v[8:11] offset:544
	;; [unrolled: 1-line block ×5, first 2 shown]
	s_waitcnt lgkmcnt(0)
	s_barrier
	s_and_b64 exec, exec, vcc
	s_cbranch_execz .LBB0_15
; %bb.14:
	global_load_dwordx4 v[0:3], v189, s[6:7]
	ds_read_b128 v[4:7], v190
	ds_read_b128 v[8:11], v190 offset:96
	v_mad_u64_u32 v[12:13], s[4:5], s2, v124, 0
	v_mad_u64_u32 v[14:15], s[4:5], s0, v255, 0
	s_mul_i32 s5, s1, 0x60
	s_mul_hi_u32 s8, s0, 0x60
	v_mad_u64_u32 v[18:19], s[2:3], s3, v124, v[13:14]
	s_mul_i32 s4, s0, 0x60
	s_add_i32 s5, s8, s5
	v_mov_b32_e32 v13, v18
	s_mul_hi_u32 s10, s0, 0xc0
	s_waitcnt vmcnt(0) lgkmcnt(1)
	v_mul_f64 v[16:17], v[6:7], v[2:3]
	v_mul_f64 v[2:3], v[4:5], v[2:3]
	v_fma_f64 v[4:5], v[4:5], v[0:1], v[16:17]
	v_fma_f64 v[0:1], v[0:1], v[6:7], -v[2:3]
	v_mad_u64_u32 v[19:20], s[2:3], s1, v255, v[15:16]
	s_mov_b32 s2, 0x14141414
	s_mov_b32 s3, 0x3f841414
	v_lshlrev_b64 v[6:7], 4, v[12:13]
	v_mov_b32_e32 v15, v19
	v_mul_f64 v[2:3], v[4:5], s[2:3]
	v_mul_f64 v[4:5], v[0:1], s[2:3]
	v_mov_b32_e32 v16, s13
	v_lshlrev_b64 v[12:13], 4, v[14:15]
	v_add_co_u32_e32 v0, vcc, s12, v6
	v_addc_co_u32_e32 v1, vcc, v16, v7, vcc
	v_add_co_u32_e32 v6, vcc, v0, v12
	v_addc_co_u32_e32 v7, vcc, v1, v13, vcc
	global_store_dwordx4 v[6:7], v[2:5], off
	global_load_dwordx4 v[2:5], v189, s[6:7] offset:96
	v_add_co_u32_e32 v14, vcc, s4, v6
	v_or_b32_e32 v20, 24, v255
	v_mad_u64_u32 v[18:19], s[8:9], s0, v20, 0
	s_waitcnt vmcnt(0) lgkmcnt(0)
	v_mul_f64 v[12:13], v[10:11], v[4:5]
	v_mul_f64 v[4:5], v[8:9], v[4:5]
	v_fma_f64 v[8:9], v[8:9], v[2:3], v[12:13]
	v_fma_f64 v[4:5], v[2:3], v[10:11], -v[4:5]
	v_mul_f64 v[2:3], v[8:9], s[2:3]
	v_mul_f64 v[4:5], v[4:5], s[2:3]
	v_mov_b32_e32 v8, s5
	v_addc_co_u32_e32 v15, vcc, v7, v8, vcc
	global_store_dwordx4 v[14:15], v[2:5], off
	global_load_dwordx4 v[2:5], v189, s[6:7] offset:192
	ds_read_b128 v[6:9], v190 offset:192
	ds_read_b128 v[10:13], v190 offset:288
	s_waitcnt vmcnt(0) lgkmcnt(1)
	v_mul_f64 v[16:17], v[8:9], v[4:5]
	v_mul_f64 v[4:5], v[6:7], v[4:5]
	v_fma_f64 v[6:7], v[6:7], v[2:3], v[16:17]
	v_fma_f64 v[4:5], v[2:3], v[8:9], -v[4:5]
	v_mul_f64 v[2:3], v[6:7], s[2:3]
	v_mul_f64 v[4:5], v[4:5], s[2:3]
	v_mov_b32_e32 v7, s5
	v_add_co_u32_e32 v6, vcc, s4, v14
	v_addc_co_u32_e32 v7, vcc, v15, v7, vcc
	v_add_co_u32_e32 v14, vcc, s4, v6
	global_store_dwordx4 v[6:7], v[2:5], off
	global_load_dwordx4 v[2:5], v189, s[6:7] offset:288
	s_waitcnt vmcnt(0) lgkmcnt(0)
	v_mul_f64 v[8:9], v[12:13], v[4:5]
	v_mul_f64 v[4:5], v[10:11], v[4:5]
	v_fma_f64 v[8:9], v[10:11], v[2:3], v[8:9]
	v_fma_f64 v[4:5], v[2:3], v[12:13], -v[4:5]
	v_mul_f64 v[2:3], v[8:9], s[2:3]
	v_mul_f64 v[4:5], v[4:5], s[2:3]
	v_mov_b32_e32 v8, s5
	v_addc_co_u32_e32 v15, vcc, v7, v8, vcc
	global_store_dwordx4 v[14:15], v[2:5], off
	global_load_dwordx4 v[2:5], v189, s[6:7] offset:384
	ds_read_b128 v[6:9], v190 offset:384
	ds_read_b128 v[10:13], v190 offset:480
	s_waitcnt vmcnt(0) lgkmcnt(1)
	v_mul_f64 v[16:17], v[8:9], v[4:5]
	v_mul_f64 v[4:5], v[6:7], v[4:5]
	v_fma_f64 v[6:7], v[6:7], v[2:3], v[16:17]
	v_fma_f64 v[4:5], v[2:3], v[8:9], -v[4:5]
	v_mov_b32_e32 v2, v19
	v_mad_u64_u32 v[8:9], s[8:9], s1, v20, v[2:3]
	s_mul_i32 s9, s1, 0xc0
	s_mul_i32 s8, s0, 0xc0
	v_mov_b32_e32 v19, v8
	v_mul_f64 v[2:3], v[6:7], s[2:3]
	v_mul_f64 v[4:5], v[4:5], s[2:3]
	v_lshlrev_b64 v[6:7], 4, v[18:19]
	s_add_i32 s9, s10, s9
	v_add_co_u32_e32 v6, vcc, v0, v6
	v_addc_co_u32_e32 v7, vcc, v1, v7, vcc
	v_add_co_u32_e32 v14, vcc, s8, v14
	global_store_dwordx4 v[6:7], v[2:5], off
	global_load_dwordx4 v[2:5], v189, s[6:7] offset:480
	v_or_b32_e32 v20, 48, v255
	v_mad_u64_u32 v[18:19], s[10:11], s0, v20, 0
	s_waitcnt vmcnt(0) lgkmcnt(0)
	v_mul_f64 v[6:7], v[12:13], v[4:5]
	v_mul_f64 v[4:5], v[10:11], v[4:5]
	v_fma_f64 v[6:7], v[10:11], v[2:3], v[6:7]
	v_fma_f64 v[4:5], v[2:3], v[12:13], -v[4:5]
	v_mul_f64 v[2:3], v[6:7], s[2:3]
	v_mul_f64 v[4:5], v[4:5], s[2:3]
	v_mov_b32_e32 v6, s9
	v_addc_co_u32_e32 v15, vcc, v15, v6, vcc
	global_store_dwordx4 v[14:15], v[2:5], off
	global_load_dwordx4 v[2:5], v189, s[6:7] offset:576
	ds_read_b128 v[6:9], v190 offset:576
	ds_read_b128 v[10:13], v190 offset:672
	s_waitcnt vmcnt(0) lgkmcnt(1)
	v_mul_f64 v[16:17], v[8:9], v[4:5]
	v_mul_f64 v[4:5], v[6:7], v[4:5]
	v_fma_f64 v[6:7], v[6:7], v[2:3], v[16:17]
	v_fma_f64 v[4:5], v[2:3], v[8:9], -v[4:5]
	v_mul_f64 v[2:3], v[6:7], s[2:3]
	v_mul_f64 v[4:5], v[4:5], s[2:3]
	v_mov_b32_e32 v7, s5
	v_add_co_u32_e32 v6, vcc, s4, v14
	v_addc_co_u32_e32 v7, vcc, v15, v7, vcc
	v_add_co_u32_e32 v14, vcc, s4, v6
	global_store_dwordx4 v[6:7], v[2:5], off
	global_load_dwordx4 v[2:5], v189, s[6:7] offset:672
	s_waitcnt vmcnt(0) lgkmcnt(0)
	v_mul_f64 v[8:9], v[12:13], v[4:5]
	v_mul_f64 v[4:5], v[10:11], v[4:5]
	v_fma_f64 v[8:9], v[10:11], v[2:3], v[8:9]
	v_fma_f64 v[4:5], v[2:3], v[12:13], -v[4:5]
	v_mul_f64 v[2:3], v[8:9], s[2:3]
	v_mul_f64 v[4:5], v[4:5], s[2:3]
	v_mov_b32_e32 v8, s5
	v_addc_co_u32_e32 v15, vcc, v7, v8, vcc
	global_store_dwordx4 v[14:15], v[2:5], off
	global_load_dwordx4 v[2:5], v189, s[6:7] offset:768
	ds_read_b128 v[6:9], v190 offset:768
	ds_read_b128 v[10:13], v190 offset:864
	s_waitcnt vmcnt(0) lgkmcnt(1)
	v_mul_f64 v[16:17], v[8:9], v[4:5]
	v_mul_f64 v[4:5], v[6:7], v[4:5]
	v_fma_f64 v[6:7], v[6:7], v[2:3], v[16:17]
	v_fma_f64 v[4:5], v[2:3], v[8:9], -v[4:5]
	v_mov_b32_e32 v2, v19
	v_mad_u64_u32 v[8:9], s[10:11], s1, v20, v[2:3]
	v_or_b32_e32 v20, 0x48, v255
	v_mov_b32_e32 v19, v8
	v_mul_f64 v[2:3], v[6:7], s[2:3]
	v_mul_f64 v[4:5], v[4:5], s[2:3]
	v_lshlrev_b64 v[6:7], 4, v[18:19]
	v_mad_u64_u32 v[18:19], s[10:11], s0, v20, 0
	v_add_co_u32_e32 v6, vcc, v0, v6
	v_addc_co_u32_e32 v7, vcc, v1, v7, vcc
	global_store_dwordx4 v[6:7], v[2:5], off
	global_load_dwordx4 v[2:5], v189, s[6:7] offset:864
	v_add_co_u32_e32 v14, vcc, s8, v14
	s_waitcnt vmcnt(0) lgkmcnt(0)
	v_mul_f64 v[6:7], v[12:13], v[4:5]
	v_mul_f64 v[4:5], v[10:11], v[4:5]
	v_fma_f64 v[6:7], v[10:11], v[2:3], v[6:7]
	v_fma_f64 v[4:5], v[2:3], v[12:13], -v[4:5]
	v_mul_f64 v[2:3], v[6:7], s[2:3]
	v_mul_f64 v[4:5], v[4:5], s[2:3]
	v_mov_b32_e32 v6, s9
	v_addc_co_u32_e32 v15, vcc, v15, v6, vcc
	global_store_dwordx4 v[14:15], v[2:5], off
	global_load_dwordx4 v[2:5], v189, s[6:7] offset:960
	ds_read_b128 v[6:9], v190 offset:960
	ds_read_b128 v[10:13], v190 offset:1056
	s_waitcnt vmcnt(0) lgkmcnt(1)
	v_mul_f64 v[16:17], v[8:9], v[4:5]
	v_mul_f64 v[4:5], v[6:7], v[4:5]
	v_fma_f64 v[6:7], v[6:7], v[2:3], v[16:17]
	v_fma_f64 v[4:5], v[2:3], v[8:9], -v[4:5]
	v_mul_f64 v[2:3], v[6:7], s[2:3]
	v_mul_f64 v[4:5], v[4:5], s[2:3]
	v_mov_b32_e32 v7, s5
	v_add_co_u32_e32 v6, vcc, s4, v14
	v_addc_co_u32_e32 v7, vcc, v15, v7, vcc
	v_add_co_u32_e32 v14, vcc, s4, v6
	global_store_dwordx4 v[6:7], v[2:5], off
	global_load_dwordx4 v[2:5], v189, s[6:7] offset:1056
	s_waitcnt vmcnt(0) lgkmcnt(0)
	v_mul_f64 v[8:9], v[12:13], v[4:5]
	v_mul_f64 v[4:5], v[10:11], v[4:5]
	v_fma_f64 v[8:9], v[10:11], v[2:3], v[8:9]
	v_fma_f64 v[4:5], v[2:3], v[12:13], -v[4:5]
	v_mul_f64 v[2:3], v[8:9], s[2:3]
	v_mul_f64 v[4:5], v[4:5], s[2:3]
	v_mov_b32_e32 v8, s5
	v_addc_co_u32_e32 v15, vcc, v7, v8, vcc
	global_store_dwordx4 v[14:15], v[2:5], off
	global_load_dwordx4 v[2:5], v189, s[6:7] offset:1152
	ds_read_b128 v[6:9], v190 offset:1152
	ds_read_b128 v[10:13], v190 offset:1248
	s_waitcnt vmcnt(0) lgkmcnt(1)
	v_mul_f64 v[16:17], v[8:9], v[4:5]
	v_mul_f64 v[4:5], v[6:7], v[4:5]
	v_fma_f64 v[6:7], v[6:7], v[2:3], v[16:17]
	v_fma_f64 v[4:5], v[2:3], v[8:9], -v[4:5]
	v_mov_b32_e32 v2, v19
	v_mad_u64_u32 v[8:9], s[10:11], s1, v20, v[2:3]
	v_mov_b32_e32 v19, v8
	v_mul_f64 v[2:3], v[6:7], s[2:3]
	v_mul_f64 v[4:5], v[4:5], s[2:3]
	v_lshlrev_b64 v[6:7], 4, v[18:19]
	v_add_co_u32_e32 v6, vcc, v0, v6
	v_addc_co_u32_e32 v7, vcc, v1, v7, vcc
	v_add_co_u32_e32 v14, vcc, s8, v14
	global_store_dwordx4 v[6:7], v[2:5], off
	global_load_dwordx4 v[2:5], v189, s[6:7] offset:1248
	s_waitcnt vmcnt(0) lgkmcnt(0)
	v_mul_f64 v[6:7], v[12:13], v[4:5]
	v_mul_f64 v[4:5], v[10:11], v[4:5]
	v_fma_f64 v[6:7], v[10:11], v[2:3], v[6:7]
	v_fma_f64 v[4:5], v[2:3], v[12:13], -v[4:5]
	v_mul_f64 v[2:3], v[6:7], s[2:3]
	v_mul_f64 v[4:5], v[4:5], s[2:3]
	v_mov_b32_e32 v6, s9
	v_addc_co_u32_e32 v15, vcc, v15, v6, vcc
	global_store_dwordx4 v[14:15], v[2:5], off
	global_load_dwordx4 v[2:5], v189, s[6:7] offset:1344
	ds_read_b128 v[6:9], v190 offset:1344
	ds_read_b128 v[10:13], v190 offset:1440
	s_waitcnt vmcnt(0) lgkmcnt(1)
	v_mul_f64 v[16:17], v[8:9], v[4:5]
	v_mul_f64 v[4:5], v[6:7], v[4:5]
	v_fma_f64 v[6:7], v[6:7], v[2:3], v[16:17]
	v_fma_f64 v[4:5], v[2:3], v[8:9], -v[4:5]
	v_mul_f64 v[2:3], v[6:7], s[2:3]
	v_mul_f64 v[4:5], v[4:5], s[2:3]
	v_mov_b32_e32 v7, s5
	v_add_co_u32_e32 v6, vcc, s4, v14
	v_addc_co_u32_e32 v7, vcc, v15, v7, vcc
	global_store_dwordx4 v[6:7], v[2:5], off
	global_load_dwordx4 v[2:5], v189, s[6:7] offset:1440
	v_add_co_u32_e32 v6, vcc, s4, v6
	s_waitcnt vmcnt(0) lgkmcnt(0)
	v_mul_f64 v[8:9], v[12:13], v[4:5]
	v_mul_f64 v[4:5], v[10:11], v[4:5]
	v_fma_f64 v[8:9], v[10:11], v[2:3], v[8:9]
	v_fma_f64 v[4:5], v[2:3], v[12:13], -v[4:5]
	v_or_b32_e32 v12, 0x60, v255
	v_mul_f64 v[2:3], v[8:9], s[2:3]
	v_mul_f64 v[4:5], v[4:5], s[2:3]
	v_mov_b32_e32 v8, s5
	v_addc_co_u32_e32 v7, vcc, v7, v8, vcc
	global_store_dwordx4 v[6:7], v[2:5], off
	global_load_dwordx4 v[2:5], v189, s[6:7] offset:1536
	ds_read_b128 v[6:9], v190 offset:1536
	s_waitcnt vmcnt(0) lgkmcnt(0)
	v_mul_f64 v[10:11], v[8:9], v[4:5]
	v_mul_f64 v[4:5], v[6:7], v[4:5]
	v_fma_f64 v[6:7], v[6:7], v[2:3], v[10:11]
	v_fma_f64 v[4:5], v[2:3], v[8:9], -v[4:5]
	v_mad_u64_u32 v[8:9], s[4:5], s0, v12, 0
	v_mov_b32_e32 v2, v9
	v_mad_u64_u32 v[9:10], s[0:1], s1, v12, v[2:3]
	v_mul_f64 v[2:3], v[6:7], s[2:3]
	v_mul_f64 v[4:5], v[4:5], s[2:3]
	v_lshlrev_b64 v[6:7], 4, v[8:9]
	v_add_co_u32_e32 v0, vcc, v0, v6
	v_addc_co_u32_e32 v1, vcc, v1, v7, vcc
	global_store_dwordx4 v[0:1], v[2:5], off
.LBB0_15:
	s_endpgm
	.section	.rodata,"a",@progbits
	.p2align	6, 0x0
	.amdhsa_kernel bluestein_single_back_len102_dim1_dp_op_CI_CI
		.amdhsa_group_segment_fixed_size 11424
		.amdhsa_private_segment_fixed_size 256
		.amdhsa_kernarg_size 104
		.amdhsa_user_sgpr_count 6
		.amdhsa_user_sgpr_private_segment_buffer 1
		.amdhsa_user_sgpr_dispatch_ptr 0
		.amdhsa_user_sgpr_queue_ptr 0
		.amdhsa_user_sgpr_kernarg_segment_ptr 1
		.amdhsa_user_sgpr_dispatch_id 0
		.amdhsa_user_sgpr_flat_scratch_init 0
		.amdhsa_user_sgpr_private_segment_size 0
		.amdhsa_uses_dynamic_stack 0
		.amdhsa_system_sgpr_private_segment_wavefront_offset 1
		.amdhsa_system_sgpr_workgroup_id_x 1
		.amdhsa_system_sgpr_workgroup_id_y 0
		.amdhsa_system_sgpr_workgroup_id_z 0
		.amdhsa_system_sgpr_workgroup_info 0
		.amdhsa_system_vgpr_workitem_id 0
		.amdhsa_next_free_vgpr 256
		.amdhsa_next_free_sgpr 64
		.amdhsa_reserve_vcc 1
		.amdhsa_reserve_flat_scratch 0
		.amdhsa_float_round_mode_32 0
		.amdhsa_float_round_mode_16_64 0
		.amdhsa_float_denorm_mode_32 3
		.amdhsa_float_denorm_mode_16_64 3
		.amdhsa_dx10_clamp 1
		.amdhsa_ieee_mode 1
		.amdhsa_fp16_overflow 0
		.amdhsa_exception_fp_ieee_invalid_op 0
		.amdhsa_exception_fp_denorm_src 0
		.amdhsa_exception_fp_ieee_div_zero 0
		.amdhsa_exception_fp_ieee_overflow 0
		.amdhsa_exception_fp_ieee_underflow 0
		.amdhsa_exception_fp_ieee_inexact 0
		.amdhsa_exception_int_div_zero 0
	.end_amdhsa_kernel
	.text
.Lfunc_end0:
	.size	bluestein_single_back_len102_dim1_dp_op_CI_CI, .Lfunc_end0-bluestein_single_back_len102_dim1_dp_op_CI_CI
                                        ; -- End function
	.section	.AMDGPU.csdata,"",@progbits
; Kernel info:
; codeLenInByte = 20676
; NumSgprs: 68
; NumVgprs: 256
; ScratchSize: 256
; MemoryBound: 0
; FloatMode: 240
; IeeeMode: 1
; LDSByteSize: 11424 bytes/workgroup (compile time only)
; SGPRBlocks: 8
; VGPRBlocks: 63
; NumSGPRsForWavesPerEU: 68
; NumVGPRsForWavesPerEU: 256
; Occupancy: 1
; WaveLimiterHint : 1
; COMPUTE_PGM_RSRC2:SCRATCH_EN: 1
; COMPUTE_PGM_RSRC2:USER_SGPR: 6
; COMPUTE_PGM_RSRC2:TRAP_HANDLER: 0
; COMPUTE_PGM_RSRC2:TGID_X_EN: 1
; COMPUTE_PGM_RSRC2:TGID_Y_EN: 0
; COMPUTE_PGM_RSRC2:TGID_Z_EN: 0
; COMPUTE_PGM_RSRC2:TIDIG_COMP_CNT: 0
	.type	__hip_cuid_4bb34217b0d1ec3c,@object ; @__hip_cuid_4bb34217b0d1ec3c
	.section	.bss,"aw",@nobits
	.globl	__hip_cuid_4bb34217b0d1ec3c
__hip_cuid_4bb34217b0d1ec3c:
	.byte	0                               ; 0x0
	.size	__hip_cuid_4bb34217b0d1ec3c, 1

	.ident	"AMD clang version 19.0.0git (https://github.com/RadeonOpenCompute/llvm-project roc-6.4.0 25133 c7fe45cf4b819c5991fe208aaa96edf142730f1d)"
	.section	".note.GNU-stack","",@progbits
	.addrsig
	.addrsig_sym __hip_cuid_4bb34217b0d1ec3c
	.amdgpu_metadata
---
amdhsa.kernels:
  - .args:
      - .actual_access:  read_only
        .address_space:  global
        .offset:         0
        .size:           8
        .value_kind:     global_buffer
      - .actual_access:  read_only
        .address_space:  global
        .offset:         8
        .size:           8
        .value_kind:     global_buffer
      - .actual_access:  read_only
        .address_space:  global
        .offset:         16
        .size:           8
        .value_kind:     global_buffer
      - .actual_access:  read_only
        .address_space:  global
        .offset:         24
        .size:           8
        .value_kind:     global_buffer
      - .actual_access:  read_only
        .address_space:  global
        .offset:         32
        .size:           8
        .value_kind:     global_buffer
      - .offset:         40
        .size:           8
        .value_kind:     by_value
      - .address_space:  global
        .offset:         48
        .size:           8
        .value_kind:     global_buffer
      - .address_space:  global
        .offset:         56
        .size:           8
        .value_kind:     global_buffer
      - .address_space:  global
        .offset:         64
        .size:           8
        .value_kind:     global_buffer
      - .address_space:  global
        .offset:         72
        .size:           8
        .value_kind:     global_buffer
      - .offset:         80
        .size:           4
        .value_kind:     by_value
      - .address_space:  global
        .offset:         88
        .size:           8
        .value_kind:     global_buffer
      - .address_space:  global
        .offset:         96
        .size:           8
        .value_kind:     global_buffer
    .group_segment_fixed_size: 11424
    .kernarg_segment_align: 8
    .kernarg_segment_size: 104
    .language:       OpenCL C
    .language_version:
      - 2
      - 0
    .max_flat_workgroup_size: 119
    .name:           bluestein_single_back_len102_dim1_dp_op_CI_CI
    .private_segment_fixed_size: 256
    .sgpr_count:     68
    .sgpr_spill_count: 0
    .symbol:         bluestein_single_back_len102_dim1_dp_op_CI_CI.kd
    .uniform_work_group_size: 1
    .uses_dynamic_stack: false
    .vgpr_count:     256
    .vgpr_spill_count: 63
    .wavefront_size: 64
amdhsa.target:   amdgcn-amd-amdhsa--gfx906
amdhsa.version:
  - 1
  - 2
...

	.end_amdgpu_metadata
